;; amdgpu-corpus repo=ROCm/rocBLAS kind=compiled arch=gfx1100 opt=O3
	.text
	.amdgcn_target "amdgcn-amd-amdhsa--gfx1100"
	.amdhsa_code_object_version 6
	.section	.text._ZL18rocblas_hpr_kernelILi64ELi16ELi2EPKfPK19rocblas_complex_numIfEPS3_EvbiT2_T3_lllT4_lli,"axG",@progbits,_ZL18rocblas_hpr_kernelILi64ELi16ELi2EPKfPK19rocblas_complex_numIfEPS3_EvbiT2_T3_lllT4_lli,comdat
	.globl	_ZL18rocblas_hpr_kernelILi64ELi16ELi2EPKfPK19rocblas_complex_numIfEPS3_EvbiT2_T3_lllT4_lli ; -- Begin function _ZL18rocblas_hpr_kernelILi64ELi16ELi2EPKfPK19rocblas_complex_numIfEPS3_EvbiT2_T3_lllT4_lli
	.p2align	8
	.type	_ZL18rocblas_hpr_kernelILi64ELi16ELi2EPKfPK19rocblas_complex_numIfEPS3_EvbiT2_T3_lllT4_lli,@function
_ZL18rocblas_hpr_kernelILi64ELi16ELi2EPKfPK19rocblas_complex_numIfEPS3_EvbiT2_T3_lllT4_lli: ; @_ZL18rocblas_hpr_kernelILi64ELi16ELi2EPKfPK19rocblas_complex_numIfEPS3_EvbiT2_T3_lllT4_lli
; %bb.0:
	s_load_b512 s[16:31], s[0:1], 0x8
	s_waitcnt lgkmcnt(0)
	s_load_b32 s4, s[16:17], 0x0
	s_waitcnt lgkmcnt(0)
	v_cmp_eq_f32_e64 s2, s4, 0
	s_delay_alu instid0(VALU_DEP_1)
	s_and_b32 vcc_lo, exec_lo, s2
	s_cbranch_vccnz .LBB0_22
; %bb.1:
	s_load_b64 s[2:3], s[0:1], 0x0
	v_and_b32_e32 v1, 0x3ff, v0
	v_bfe_u32 v0, v0, 10, 10
	s_delay_alu instid0(VALU_DEP_2) | instskip(NEXT) | instid1(VALU_DEP_2)
	v_lshl_add_u32 v5, s13, 7, v1
	v_lshl_add_u32 v2, s14, 4, v0
	s_waitcnt lgkmcnt(0)
	s_bitcmp1_b32 s2, 0
	s_cselect_b32 s0, -1, 0
	s_delay_alu instid0(SALU_CYCLE_1)
	s_xor_b32 s8, s0, -1
	s_mov_b32 s0, -1
	s_and_b32 vcc_lo, exec_lo, s8
	s_cbranch_vccz .LBB0_3
; %bb.2:
	s_lshl_b32 s0, s3, 1
	s_delay_alu instid0(SALU_CYCLE_1) | instskip(NEXT) | instid1(VALU_DEP_1)
	v_sub_nc_u32_e32 v3, s0, v2
	v_mad_u64_u32 v[0:1], null, v2, v3, v[2:3]
	s_delay_alu instid0(VALU_DEP_1) | instskip(NEXT) | instid1(VALU_DEP_1)
	v_lshrrev_b32_e32 v1, 31, v0
	v_add_nc_u32_e32 v0, v0, v1
	v_sub_nc_u32_e32 v1, v5, v2
	s_delay_alu instid0(VALU_DEP_2) | instskip(NEXT) | instid1(VALU_DEP_1)
	v_ashrrev_i32_e32 v0, 1, v0
	v_add_nc_u32_e32 v0, v1, v0
	s_cbranch_execz .LBB0_4
	s_branch .LBB0_5
.LBB0_3:
                                        ; implicit-def: $vgpr0
	s_and_not1_b32 vcc_lo, exec_lo, s0
	s_cbranch_vccnz .LBB0_5
.LBB0_4:
	v_mad_u64_u32 v[0:1], null, v2, v2, v[2:3]
	s_delay_alu instid0(VALU_DEP_1) | instskip(NEXT) | instid1(VALU_DEP_1)
	v_lshrrev_b32_e32 v1, 31, v0
	v_add_nc_u32_e32 v0, v0, v1
	s_delay_alu instid0(VALU_DEP_1) | instskip(NEXT) | instid1(VALU_DEP_1)
	v_ashrrev_i32_e32 v0, 1, v0
	v_add_nc_u32_e32 v0, v0, v5
.LBB0_5:
	v_ashrrev_i32_e32 v1, 31, v2
	s_mul_i32 s1, s15, s25
	s_mul_hi_u32 s2, s15, s24
	s_mul_i32 s0, s15, s24
	s_add_i32 s1, s2, s1
	v_mul_lo_u32 v6, v2, s23
	s_lshl_b64 s[0:1], s[0:1], 3
	v_mul_lo_u32 v1, v1, s22
	v_mad_u64_u32 v[3:4], null, v2, s22, 0
	s_add_u32 s2, s18, s0
	s_addc_u32 s5, s19, s1
	s_lshl_b64 s[0:1], s[20:21], 3
	s_mul_i32 s6, s15, s31
	s_add_u32 s2, s2, s0
	s_mul_hi_u32 s0, s15, s30
	s_addc_u32 s7, s5, s1
	s_add_i32 s1, s0, s6
	s_mul_i32 s0, s15, s30
	v_add3_u32 v4, v4, v6, v1
	s_lshl_b64 s[0:1], s[0:1], 3
	s_delay_alu instid0(SALU_CYCLE_1)
	s_add_u32 s5, s26, s0
	s_addc_u32 s6, s27, s1
	s_lshl_b64 s[0:1], s[28:29], 3
	v_lshlrev_b64 v[3:4], 3, v[3:4]
	s_add_u32 s5, s5, s0
	v_cmp_gt_i32_e64 s0, s3, v2
	s_addc_u32 s6, s6, s1
	s_and_b32 vcc_lo, exec_lo, s8
	s_cbranch_vccz .LBB0_7
; %bb.6:
	v_cmp_le_i32_e32 vcc_lo, s3, v5
	v_cmp_le_i32_e64 s1, v5, v2
	s_mov_b32 s9, -1
	s_delay_alu instid0(VALU_DEP_1) | instskip(NEXT) | instid1(SALU_CYCLE_1)
	s_or_b32 s1, s1, vcc_lo
	s_and_b32 s1, s1, exec_lo
	s_cbranch_execz .LBB0_8
	s_branch .LBB0_9
.LBB0_7:
	s_mov_b32 s1, 0
	s_mov_b32 s9, 0
.LBB0_8:
	v_cmp_lt_i32_e32 vcc_lo, v5, v2
	s_and_not1_b32 s9, s9, exec_lo
	s_and_not1_b32 s1, s1, exec_lo
	s_and_b32 s10, vcc_lo, s0
	s_delay_alu instid0(SALU_CYCLE_1)
	s_xor_b32 s11, s10, -1
	s_and_b32 s10, s10, exec_lo
	s_and_b32 s11, s11, exec_lo
	s_or_b32 s9, s9, s10
	s_or_b32 s1, s1, s11
.LBB0_9:
	v_add_co_u32 v3, vcc_lo, s2, v3
	v_add_co_ci_u32_e32 v4, vcc_lo, s7, v4, vcc_lo
	s_and_saveexec_b32 s10, s1
	s_delay_alu instid0(SALU_CYCLE_1)
	s_xor_b32 s10, exec_lo, s10
	s_cbranch_execz .LBB0_13
; %bb.10:
	v_cmp_eq_u32_e32 vcc_lo, v5, v2
	v_cmp_gt_i32_e64 s1, s3, v5
	s_delay_alu instid0(VALU_DEP_1) | instskip(NEXT) | instid1(SALU_CYCLE_1)
	s_and_b32 s11, vcc_lo, s1
	s_and_saveexec_b32 s1, s11
	s_cbranch_execz .LBB0_12
; %bb.11:
	v_ashrrev_i32_e32 v1, 31, v5
	v_mul_lo_u32 v8, v5, s23
	v_mad_u64_u32 v[6:7], null, v5, s22, 0
	v_mov_b32_e32 v11, 0
	s_delay_alu instid0(VALU_DEP_4) | instskip(NEXT) | instid1(VALU_DEP_1)
	v_mul_lo_u32 v1, v1, s22
	v_add3_u32 v7, v7, v8, v1
	v_ashrrev_i32_e32 v1, 31, v0
	s_delay_alu instid0(VALU_DEP_2) | instskip(NEXT) | instid1(VALU_DEP_2)
	v_lshlrev_b64 v[6:7], 3, v[6:7]
	v_lshlrev_b64 v[8:9], 3, v[0:1]
	s_delay_alu instid0(VALU_DEP_2) | instskip(NEXT) | instid1(VALU_DEP_3)
	v_add_co_u32 v6, vcc_lo, s2, v6
	v_add_co_ci_u32_e32 v7, vcc_lo, s7, v7, vcc_lo
	s_delay_alu instid0(VALU_DEP_3) | instskip(NEXT) | instid1(VALU_DEP_4)
	v_add_co_u32 v8, vcc_lo, s5, v8
	v_add_co_ci_u32_e32 v9, vcc_lo, s6, v9, vcc_lo
	global_load_b64 v[6:7], v[6:7], off
	global_load_b32 v10, v[8:9], off
	s_waitcnt vmcnt(1)
	v_mul_f32_e32 v1, v7, v7
	s_delay_alu instid0(VALU_DEP_1) | instskip(SKIP_1) | instid1(VALU_DEP_1)
	v_fmac_f32_e32 v1, v6, v6
	s_waitcnt vmcnt(0)
	v_fmac_f32_e32 v10, s4, v1
	global_store_b64 v[8:9], v[10:11], off
.LBB0_12:
	s_or_b32 exec_lo, exec_lo, s1
	s_delay_alu instid0(SALU_CYCLE_1)
	s_and_not1_b32 s9, s9, exec_lo
.LBB0_13:
	s_or_b32 exec_lo, exec_lo, s10
	v_ashrrev_i32_e32 v1, 31, v0
	s_and_saveexec_b32 s1, s9
	s_cbranch_execz .LBB0_15
; %bb.14:
	v_ashrrev_i32_e32 v8, 31, v5
	v_mul_lo_u32 v9, v5, s23
	v_mad_u64_u32 v[6:7], null, v5, s22, 0
	global_load_b64 v[10:11], v[3:4], off
	v_mul_lo_u32 v8, v8, s22
	s_delay_alu instid0(VALU_DEP_1) | instskip(SKIP_1) | instid1(VALU_DEP_2)
	v_add3_u32 v7, v7, v9, v8
	v_lshlrev_b64 v[8:9], 3, v[0:1]
	v_lshlrev_b64 v[6:7], 3, v[6:7]
	s_delay_alu instid0(VALU_DEP_1) | instskip(NEXT) | instid1(VALU_DEP_2)
	v_add_co_u32 v6, vcc_lo, s2, v6
	v_add_co_ci_u32_e32 v7, vcc_lo, s7, v7, vcc_lo
	s_delay_alu instid0(VALU_DEP_4)
	v_add_co_u32 v8, vcc_lo, s5, v8
	v_add_co_ci_u32_e32 v9, vcc_lo, s6, v9, vcc_lo
	global_load_b64 v[6:7], v[6:7], off
	global_load_b64 v[12:13], v[8:9], off
	s_waitcnt vmcnt(1)
	v_dual_mul_f32 v7, s4, v7 :: v_dual_mul_f32 v6, s4, v6
	s_delay_alu instid0(VALU_DEP_1) | instskip(NEXT) | instid1(VALU_DEP_1)
	v_mul_f32_e32 v14, v7, v11
	v_fmac_f32_e32 v14, v6, v10
	s_waitcnt vmcnt(0)
	s_delay_alu instid0(VALU_DEP_1) | instskip(NEXT) | instid1(VALU_DEP_1)
	v_dual_mul_f32 v11, v6, v11 :: v_dual_add_f32 v6, v12, v14
	v_fma_f32 v7, v7, v10, -v11
	s_delay_alu instid0(VALU_DEP_1)
	v_add_f32_e32 v7, v13, v7
	global_store_b64 v[8:9], v[6:7], off
.LBB0_15:
	s_or_b32 exec_lo, exec_lo, s1
	v_add_nc_u32_e32 v5, 64, v5
	s_and_not1_b32 vcc_lo, exec_lo, s8
	s_delay_alu instid0(VALU_DEP_1)
	v_cmp_gt_i32_e64 s1, s3, v5
	s_cbranch_vccnz .LBB0_17
; %bb.16:
	v_cmp_lt_i32_e32 vcc_lo, v2, v5
	s_delay_alu instid0(VALU_DEP_2) | instskip(NEXT) | instid1(SALU_CYCLE_1)
	s_and_b32 s1, s1, vcc_lo
	s_xor_b32 s9, s1, -1
	s_and_b32 s1, s1, exec_lo
	s_and_b32 s9, s9, exec_lo
	s_cbranch_execz .LBB0_18
	s_branch .LBB0_19
.LBB0_17:
	s_mov_b32 s9, 0
	s_mov_b32 s1, 0
.LBB0_18:
	v_cmp_ge_i32_e32 vcc_lo, v5, v2
	s_xor_b32 s0, s0, -1
	s_and_not1_b32 s8, s9, exec_lo
	s_or_b32 s1, s1, exec_lo
	s_or_b32 s0, s0, vcc_lo
	s_delay_alu instid0(SALU_CYCLE_1) | instskip(NEXT) | instid1(SALU_CYCLE_1)
	s_and_b32 s0, s0, exec_lo
	s_or_b32 s9, s8, s0
.LBB0_19:
	s_delay_alu instid0(SALU_CYCLE_1)
	s_and_saveexec_b32 s8, s9
	s_cbranch_execnz .LBB0_23
; %bb.20:
	s_or_b32 exec_lo, exec_lo, s8
	s_and_saveexec_b32 s0, s1
	s_cbranch_execz .LBB0_22
.LBB0_21:
	v_ashrrev_i32_e32 v2, 31, v5
	v_mul_lo_u32 v8, v5, s23
	v_mad_u64_u32 v[6:7], null, v5, s22, 0
	v_lshlrev_b64 v[0:1], 3, v[0:1]
	s_delay_alu instid0(VALU_DEP_4) | instskip(NEXT) | instid1(VALU_DEP_1)
	v_mul_lo_u32 v2, v2, s22
	v_add3_u32 v7, v7, v8, v2
	global_load_b64 v[2:3], v[3:4], off
	v_lshlrev_b64 v[5:6], 3, v[6:7]
	s_delay_alu instid0(VALU_DEP_1) | instskip(NEXT) | instid1(VALU_DEP_2)
	v_add_co_u32 v5, vcc_lo, s2, v5
	v_add_co_ci_u32_e32 v6, vcc_lo, s7, v6, vcc_lo
	v_add_co_u32 v0, vcc_lo, s5, v0
	v_add_co_ci_u32_e32 v1, vcc_lo, s6, v1, vcc_lo
	global_load_b64 v[5:6], v[5:6], off
	global_load_b64 v[7:8], v[0:1], off offset:512
	s_waitcnt vmcnt(1)
	v_dual_mul_f32 v4, s4, v6 :: v_dual_mul_f32 v5, s4, v5
	s_delay_alu instid0(VALU_DEP_1) | instskip(NEXT) | instid1(VALU_DEP_1)
	v_mul_f32_e32 v6, v4, v3
	v_fmac_f32_e32 v6, v5, v2
	v_mul_f32_e32 v3, v5, v3
	s_delay_alu instid0(VALU_DEP_1) | instskip(SKIP_1) | instid1(VALU_DEP_1)
	v_fma_f32 v3, v4, v2, -v3
	s_waitcnt vmcnt(0)
	v_dual_add_f32 v3, v8, v3 :: v_dual_add_f32 v2, v7, v6
	global_store_b64 v[0:1], v[2:3], off offset:512
.LBB0_22:
	s_nop 0
	s_sendmsg sendmsg(MSG_DEALLOC_VGPRS)
	s_endpgm
.LBB0_23:
	v_cmp_eq_u32_e32 vcc_lo, v5, v2
	v_cmp_gt_i32_e64 s0, s3, v5
	s_delay_alu instid0(VALU_DEP_1) | instskip(NEXT) | instid1(SALU_CYCLE_1)
	s_and_b32 s3, vcc_lo, s0
	s_and_saveexec_b32 s0, s3
	s_cbranch_execz .LBB0_25
; %bb.24:
	v_lshlrev_b64 v[6:7], 3, v[0:1]
	global_load_b64 v[8:9], v[3:4], off
	v_mov_b32_e32 v11, 0
	v_add_co_u32 v6, vcc_lo, s5, v6
	v_add_co_ci_u32_e32 v7, vcc_lo, s6, v7, vcc_lo
	global_load_b32 v10, v[6:7], off offset:512
	s_waitcnt vmcnt(1)
	v_mul_f32_e32 v2, v9, v9
	s_delay_alu instid0(VALU_DEP_1) | instskip(SKIP_1) | instid1(VALU_DEP_1)
	v_fmac_f32_e32 v2, v8, v8
	s_waitcnt vmcnt(0)
	v_fmac_f32_e32 v10, s4, v2
	global_store_b64 v[6:7], v[10:11], off offset:512
.LBB0_25:
	s_or_b32 exec_lo, exec_lo, s0
	s_delay_alu instid0(SALU_CYCLE_1)
	s_and_not1_b32 s1, s1, exec_lo
	s_or_b32 exec_lo, exec_lo, s8
	s_and_saveexec_b32 s0, s1
	s_cbranch_execnz .LBB0_21
	s_branch .LBB0_22
	.section	.rodata,"a",@progbits
	.p2align	6, 0x0
	.amdhsa_kernel _ZL18rocblas_hpr_kernelILi64ELi16ELi2EPKfPK19rocblas_complex_numIfEPS3_EvbiT2_T3_lllT4_lli
		.amdhsa_group_segment_fixed_size 0
		.amdhsa_private_segment_fixed_size 0
		.amdhsa_kernarg_size 76
		.amdhsa_user_sgpr_count 13
		.amdhsa_user_sgpr_dispatch_ptr 0
		.amdhsa_user_sgpr_queue_ptr 0
		.amdhsa_user_sgpr_kernarg_segment_ptr 1
		.amdhsa_user_sgpr_dispatch_id 0
		.amdhsa_user_sgpr_private_segment_size 0
		.amdhsa_wavefront_size32 1
		.amdhsa_uses_dynamic_stack 0
		.amdhsa_enable_private_segment 0
		.amdhsa_system_sgpr_workgroup_id_x 1
		.amdhsa_system_sgpr_workgroup_id_y 1
		.amdhsa_system_sgpr_workgroup_id_z 1
		.amdhsa_system_sgpr_workgroup_info 0
		.amdhsa_system_vgpr_workitem_id 1
		.amdhsa_next_free_vgpr 15
		.amdhsa_next_free_sgpr 32
		.amdhsa_reserve_vcc 1
		.amdhsa_float_round_mode_32 0
		.amdhsa_float_round_mode_16_64 0
		.amdhsa_float_denorm_mode_32 3
		.amdhsa_float_denorm_mode_16_64 3
		.amdhsa_dx10_clamp 1
		.amdhsa_ieee_mode 1
		.amdhsa_fp16_overflow 0
		.amdhsa_workgroup_processor_mode 1
		.amdhsa_memory_ordered 1
		.amdhsa_forward_progress 0
		.amdhsa_shared_vgpr_count 0
		.amdhsa_exception_fp_ieee_invalid_op 0
		.amdhsa_exception_fp_denorm_src 0
		.amdhsa_exception_fp_ieee_div_zero 0
		.amdhsa_exception_fp_ieee_overflow 0
		.amdhsa_exception_fp_ieee_underflow 0
		.amdhsa_exception_fp_ieee_inexact 0
		.amdhsa_exception_int_div_zero 0
	.end_amdhsa_kernel
	.section	.text._ZL18rocblas_hpr_kernelILi64ELi16ELi2EPKfPK19rocblas_complex_numIfEPS3_EvbiT2_T3_lllT4_lli,"axG",@progbits,_ZL18rocblas_hpr_kernelILi64ELi16ELi2EPKfPK19rocblas_complex_numIfEPS3_EvbiT2_T3_lllT4_lli,comdat
.Lfunc_end0:
	.size	_ZL18rocblas_hpr_kernelILi64ELi16ELi2EPKfPK19rocblas_complex_numIfEPS3_EvbiT2_T3_lllT4_lli, .Lfunc_end0-_ZL18rocblas_hpr_kernelILi64ELi16ELi2EPKfPK19rocblas_complex_numIfEPS3_EvbiT2_T3_lllT4_lli
                                        ; -- End function
	.section	.AMDGPU.csdata,"",@progbits
; Kernel info:
; codeLenInByte = 1284
; NumSgprs: 34
; NumVgprs: 15
; ScratchSize: 0
; MemoryBound: 0
; FloatMode: 240
; IeeeMode: 1
; LDSByteSize: 0 bytes/workgroup (compile time only)
; SGPRBlocks: 4
; VGPRBlocks: 1
; NumSGPRsForWavesPerEU: 34
; NumVGPRsForWavesPerEU: 15
; Occupancy: 16
; WaveLimiterHint : 0
; COMPUTE_PGM_RSRC2:SCRATCH_EN: 0
; COMPUTE_PGM_RSRC2:USER_SGPR: 13
; COMPUTE_PGM_RSRC2:TRAP_HANDLER: 0
; COMPUTE_PGM_RSRC2:TGID_X_EN: 1
; COMPUTE_PGM_RSRC2:TGID_Y_EN: 1
; COMPUTE_PGM_RSRC2:TGID_Z_EN: 1
; COMPUTE_PGM_RSRC2:TIDIG_COMP_CNT: 1
	.section	.text._ZL18rocblas_hpr_kernelILi64ELi16ELi2EfPK19rocblas_complex_numIfEPS1_EvbiT2_T3_lllT4_lli,"axG",@progbits,_ZL18rocblas_hpr_kernelILi64ELi16ELi2EfPK19rocblas_complex_numIfEPS1_EvbiT2_T3_lllT4_lli,comdat
	.globl	_ZL18rocblas_hpr_kernelILi64ELi16ELi2EfPK19rocblas_complex_numIfEPS1_EvbiT2_T3_lllT4_lli ; -- Begin function _ZL18rocblas_hpr_kernelILi64ELi16ELi2EfPK19rocblas_complex_numIfEPS1_EvbiT2_T3_lllT4_lli
	.p2align	8
	.type	_ZL18rocblas_hpr_kernelILi64ELi16ELi2EfPK19rocblas_complex_numIfEPS1_EvbiT2_T3_lllT4_lli,@function
_ZL18rocblas_hpr_kernelILi64ELi16ELi2EfPK19rocblas_complex_numIfEPS1_EvbiT2_T3_lllT4_lli: ; @_ZL18rocblas_hpr_kernelILi64ELi16ELi2EfPK19rocblas_complex_numIfEPS1_EvbiT2_T3_lllT4_lli
; %bb.0:
	s_load_b128 s[24:27], s[0:1], 0x0
	s_waitcnt lgkmcnt(0)
	v_cmp_eq_f32_e64 s2, s26, 0
	s_delay_alu instid0(VALU_DEP_1)
	s_and_b32 vcc_lo, exec_lo, s2
	s_cbranch_vccnz .LBB1_22
; %bb.1:
	v_and_b32_e32 v1, 0x3ff, v0
	v_bfe_u32 v0, v0, 10, 10
	s_bitcmp1_b32 s24, 0
	s_cselect_b32 s2, -1, 0
	s_delay_alu instid0(VALU_DEP_2) | instskip(NEXT) | instid1(VALU_DEP_2)
	v_lshl_add_u32 v5, s13, 7, v1
	v_lshl_add_u32 v2, s14, 4, v0
	s_xor_b32 s12, s2, -1
	s_mov_b32 s2, -1
	s_and_b32 vcc_lo, exec_lo, s12
	s_cbranch_vccz .LBB1_3
; %bb.2:
	s_lshl_b32 s2, s25, 1
	s_delay_alu instid0(SALU_CYCLE_1) | instskip(NEXT) | instid1(VALU_DEP_1)
	v_sub_nc_u32_e32 v3, s2, v2
	v_mad_u64_u32 v[0:1], null, v2, v3, v[2:3]
	s_delay_alu instid0(VALU_DEP_1) | instskip(NEXT) | instid1(VALU_DEP_1)
	v_lshrrev_b32_e32 v1, 31, v0
	v_add_nc_u32_e32 v0, v0, v1
	v_sub_nc_u32_e32 v1, v5, v2
	s_delay_alu instid0(VALU_DEP_2) | instskip(NEXT) | instid1(VALU_DEP_1)
	v_ashrrev_i32_e32 v0, 1, v0
	v_add_nc_u32_e32 v0, v1, v0
	s_cbranch_execz .LBB1_4
	s_branch .LBB1_5
.LBB1_3:
                                        ; implicit-def: $vgpr0
	s_and_not1_b32 vcc_lo, exec_lo, s2
	s_cbranch_vccnz .LBB1_5
.LBB1_4:
	v_mad_u64_u32 v[0:1], null, v2, v2, v[2:3]
	s_delay_alu instid0(VALU_DEP_1) | instskip(NEXT) | instid1(VALU_DEP_1)
	v_lshrrev_b32_e32 v1, 31, v0
	v_add_nc_u32_e32 v0, v0, v1
	s_delay_alu instid0(VALU_DEP_1) | instskip(NEXT) | instid1(VALU_DEP_1)
	v_ashrrev_i32_e32 v0, 1, v0
	v_add_nc_u32_e32 v0, v0, v5
.LBB1_5:
	s_clause 0x1
	s_load_b256 s[4:11], s[0:1], 0x10
	s_load_b256 s[16:23], s[0:1], 0x30
	v_ashrrev_i32_e32 v1, 31, v2
	s_waitcnt lgkmcnt(0)
	s_mul_i32 s1, s15, s11
	s_mul_hi_u32 s2, s15, s10
	v_mul_lo_u32 v6, v2, s9
	v_mul_lo_u32 v1, v1, s8
	v_mad_u64_u32 v[3:4], null, v2, s8, 0
	s_mul_i32 s0, s15, s10
	s_add_i32 s1, s2, s1
	s_mul_i32 s3, s15, s21
	s_lshl_b64 s[0:1], s[0:1], 3
	s_mul_hi_u32 s10, s15, s20
	s_add_u32 s4, s4, s0
	s_addc_u32 s5, s5, s1
	s_lshl_b64 s[0:1], s[6:7], 3
	v_add3_u32 v4, v4, v6, v1
	s_add_u32 s4, s4, s0
	s_mul_i32 s2, s15, s20
	s_addc_u32 s5, s5, s1
	s_add_i32 s3, s10, s3
	v_lshlrev_b64 v[3:4], 3, v[3:4]
	s_lshl_b64 s[2:3], s[2:3], 3
	v_cmp_gt_i32_e64 s0, s25, v2
	s_add_u32 s1, s16, s2
	s_addc_u32 s6, s17, s3
	s_lshl_b64 s[2:3], s[18:19], 3
	s_delay_alu instid0(SALU_CYCLE_1)
	s_add_u32 s2, s1, s2
	s_addc_u32 s3, s6, s3
	s_and_b32 vcc_lo, exec_lo, s12
	s_cbranch_vccz .LBB1_7
; %bb.6:
	v_cmp_le_i32_e32 vcc_lo, s25, v5
	v_cmp_le_i32_e64 s1, v5, v2
	s_mov_b32 s6, -1
	s_delay_alu instid0(VALU_DEP_1) | instskip(NEXT) | instid1(SALU_CYCLE_1)
	s_or_b32 s1, s1, vcc_lo
	s_and_b32 s1, s1, exec_lo
	s_cbranch_execz .LBB1_8
	s_branch .LBB1_9
.LBB1_7:
	s_mov_b32 s1, 0
	s_mov_b32 s6, 0
.LBB1_8:
	v_cmp_lt_i32_e32 vcc_lo, v5, v2
	s_and_not1_b32 s6, s6, exec_lo
	s_and_not1_b32 s1, s1, exec_lo
	s_and_b32 s7, vcc_lo, s0
	s_delay_alu instid0(SALU_CYCLE_1)
	s_xor_b32 s10, s7, -1
	s_and_b32 s7, s7, exec_lo
	s_and_b32 s10, s10, exec_lo
	s_or_b32 s6, s6, s7
	s_or_b32 s1, s1, s10
.LBB1_9:
	v_add_co_u32 v3, vcc_lo, s4, v3
	v_add_co_ci_u32_e32 v4, vcc_lo, s5, v4, vcc_lo
	s_and_saveexec_b32 s7, s1
	s_delay_alu instid0(SALU_CYCLE_1)
	s_xor_b32 s7, exec_lo, s7
	s_cbranch_execz .LBB1_13
; %bb.10:
	v_cmp_eq_u32_e32 vcc_lo, v5, v2
	v_cmp_gt_i32_e64 s1, s25, v5
	s_delay_alu instid0(VALU_DEP_1) | instskip(NEXT) | instid1(SALU_CYCLE_1)
	s_and_b32 s10, vcc_lo, s1
	s_and_saveexec_b32 s1, s10
	s_cbranch_execz .LBB1_12
; %bb.11:
	v_ashrrev_i32_e32 v1, 31, v5
	v_mul_lo_u32 v8, v5, s9
	v_mad_u64_u32 v[6:7], null, v5, s8, 0
	v_mov_b32_e32 v11, 0
	s_delay_alu instid0(VALU_DEP_4) | instskip(NEXT) | instid1(VALU_DEP_1)
	v_mul_lo_u32 v1, v1, s8
	v_add3_u32 v7, v7, v8, v1
	v_ashrrev_i32_e32 v1, 31, v0
	s_delay_alu instid0(VALU_DEP_2) | instskip(NEXT) | instid1(VALU_DEP_2)
	v_lshlrev_b64 v[6:7], 3, v[6:7]
	v_lshlrev_b64 v[8:9], 3, v[0:1]
	s_delay_alu instid0(VALU_DEP_2) | instskip(NEXT) | instid1(VALU_DEP_3)
	v_add_co_u32 v6, vcc_lo, s4, v6
	v_add_co_ci_u32_e32 v7, vcc_lo, s5, v7, vcc_lo
	s_delay_alu instid0(VALU_DEP_3) | instskip(NEXT) | instid1(VALU_DEP_4)
	v_add_co_u32 v8, vcc_lo, s2, v8
	v_add_co_ci_u32_e32 v9, vcc_lo, s3, v9, vcc_lo
	global_load_b64 v[6:7], v[6:7], off
	global_load_b32 v10, v[8:9], off
	s_waitcnt vmcnt(1)
	v_mul_f32_e32 v1, v7, v7
	s_delay_alu instid0(VALU_DEP_1) | instskip(SKIP_1) | instid1(VALU_DEP_1)
	v_fmac_f32_e32 v1, v6, v6
	s_waitcnt vmcnt(0)
	v_fmac_f32_e32 v10, s26, v1
	global_store_b64 v[8:9], v[10:11], off
.LBB1_12:
	s_or_b32 exec_lo, exec_lo, s1
	s_delay_alu instid0(SALU_CYCLE_1)
	s_and_not1_b32 s6, s6, exec_lo
.LBB1_13:
	s_or_b32 exec_lo, exec_lo, s7
	v_ashrrev_i32_e32 v1, 31, v0
	s_and_saveexec_b32 s1, s6
	s_cbranch_execz .LBB1_15
; %bb.14:
	v_ashrrev_i32_e32 v8, 31, v5
	v_mul_lo_u32 v9, v5, s9
	v_mad_u64_u32 v[6:7], null, v5, s8, 0
	global_load_b64 v[10:11], v[3:4], off
	v_mul_lo_u32 v8, v8, s8
	s_delay_alu instid0(VALU_DEP_1) | instskip(SKIP_1) | instid1(VALU_DEP_2)
	v_add3_u32 v7, v7, v9, v8
	v_lshlrev_b64 v[8:9], 3, v[0:1]
	v_lshlrev_b64 v[6:7], 3, v[6:7]
	s_delay_alu instid0(VALU_DEP_1) | instskip(NEXT) | instid1(VALU_DEP_2)
	v_add_co_u32 v6, vcc_lo, s4, v6
	v_add_co_ci_u32_e32 v7, vcc_lo, s5, v7, vcc_lo
	s_delay_alu instid0(VALU_DEP_4)
	v_add_co_u32 v8, vcc_lo, s2, v8
	v_add_co_ci_u32_e32 v9, vcc_lo, s3, v9, vcc_lo
	global_load_b64 v[6:7], v[6:7], off
	global_load_b64 v[12:13], v[8:9], off
	s_waitcnt vmcnt(1)
	v_dual_mul_f32 v7, s26, v7 :: v_dual_mul_f32 v6, s26, v6
	s_delay_alu instid0(VALU_DEP_1) | instskip(NEXT) | instid1(VALU_DEP_1)
	v_mul_f32_e32 v14, v7, v11
	v_fmac_f32_e32 v14, v6, v10
	s_waitcnt vmcnt(0)
	s_delay_alu instid0(VALU_DEP_1) | instskip(NEXT) | instid1(VALU_DEP_1)
	v_dual_mul_f32 v11, v6, v11 :: v_dual_add_f32 v6, v12, v14
	v_fma_f32 v7, v7, v10, -v11
	s_delay_alu instid0(VALU_DEP_1)
	v_add_f32_e32 v7, v13, v7
	global_store_b64 v[8:9], v[6:7], off
.LBB1_15:
	s_or_b32 exec_lo, exec_lo, s1
	v_add_nc_u32_e32 v5, 64, v5
	s_and_not1_b32 vcc_lo, exec_lo, s12
	s_delay_alu instid0(VALU_DEP_1)
	v_cmp_gt_i32_e64 s1, s25, v5
	s_cbranch_vccnz .LBB1_17
; %bb.16:
	v_cmp_lt_i32_e32 vcc_lo, v2, v5
	s_delay_alu instid0(VALU_DEP_2) | instskip(NEXT) | instid1(SALU_CYCLE_1)
	s_and_b32 s1, s1, vcc_lo
	s_xor_b32 s7, s1, -1
	s_and_b32 s1, s1, exec_lo
	s_and_b32 s7, s7, exec_lo
	s_cbranch_execz .LBB1_18
	s_branch .LBB1_19
.LBB1_17:
	s_mov_b32 s7, 0
	s_mov_b32 s1, 0
.LBB1_18:
	v_cmp_ge_i32_e32 vcc_lo, v5, v2
	s_xor_b32 s0, s0, -1
	s_and_not1_b32 s6, s7, exec_lo
	s_or_b32 s1, s1, exec_lo
	s_or_b32 s0, s0, vcc_lo
	s_delay_alu instid0(SALU_CYCLE_1) | instskip(NEXT) | instid1(SALU_CYCLE_1)
	s_and_b32 s0, s0, exec_lo
	s_or_b32 s7, s6, s0
.LBB1_19:
	s_delay_alu instid0(SALU_CYCLE_1)
	s_and_saveexec_b32 s6, s7
	s_cbranch_execnz .LBB1_23
; %bb.20:
	s_or_b32 exec_lo, exec_lo, s6
	s_and_saveexec_b32 s0, s1
	s_cbranch_execz .LBB1_22
.LBB1_21:
	v_ashrrev_i32_e32 v2, 31, v5
	v_mul_lo_u32 v8, v5, s9
	v_mad_u64_u32 v[6:7], null, v5, s8, 0
	v_lshlrev_b64 v[0:1], 3, v[0:1]
	s_delay_alu instid0(VALU_DEP_4) | instskip(NEXT) | instid1(VALU_DEP_1)
	v_mul_lo_u32 v2, v2, s8
	v_add3_u32 v7, v7, v8, v2
	global_load_b64 v[2:3], v[3:4], off
	v_lshlrev_b64 v[5:6], 3, v[6:7]
	s_delay_alu instid0(VALU_DEP_1) | instskip(NEXT) | instid1(VALU_DEP_2)
	v_add_co_u32 v5, vcc_lo, s4, v5
	v_add_co_ci_u32_e32 v6, vcc_lo, s5, v6, vcc_lo
	v_add_co_u32 v0, vcc_lo, s2, v0
	v_add_co_ci_u32_e32 v1, vcc_lo, s3, v1, vcc_lo
	global_load_b64 v[5:6], v[5:6], off
	global_load_b64 v[7:8], v[0:1], off offset:512
	s_waitcnt vmcnt(1)
	v_dual_mul_f32 v4, s26, v6 :: v_dual_mul_f32 v5, s26, v5
	s_delay_alu instid0(VALU_DEP_1) | instskip(NEXT) | instid1(VALU_DEP_1)
	v_mul_f32_e32 v6, v4, v3
	v_fmac_f32_e32 v6, v5, v2
	v_mul_f32_e32 v3, v5, v3
	s_delay_alu instid0(VALU_DEP_1) | instskip(SKIP_1) | instid1(VALU_DEP_1)
	v_fma_f32 v3, v4, v2, -v3
	s_waitcnt vmcnt(0)
	v_dual_add_f32 v3, v8, v3 :: v_dual_add_f32 v2, v7, v6
	global_store_b64 v[0:1], v[2:3], off offset:512
.LBB1_22:
	s_nop 0
	s_sendmsg sendmsg(MSG_DEALLOC_VGPRS)
	s_endpgm
.LBB1_23:
	v_cmp_eq_u32_e32 vcc_lo, v5, v2
	v_cmp_gt_i32_e64 s0, s25, v5
	s_delay_alu instid0(VALU_DEP_1) | instskip(NEXT) | instid1(SALU_CYCLE_1)
	s_and_b32 s7, vcc_lo, s0
	s_and_saveexec_b32 s0, s7
	s_cbranch_execz .LBB1_25
; %bb.24:
	v_lshlrev_b64 v[6:7], 3, v[0:1]
	global_load_b64 v[8:9], v[3:4], off
	v_mov_b32_e32 v11, 0
	v_add_co_u32 v6, vcc_lo, s2, v6
	v_add_co_ci_u32_e32 v7, vcc_lo, s3, v7, vcc_lo
	global_load_b32 v10, v[6:7], off offset:512
	s_waitcnt vmcnt(1)
	v_mul_f32_e32 v2, v9, v9
	s_delay_alu instid0(VALU_DEP_1) | instskip(SKIP_1) | instid1(VALU_DEP_1)
	v_fmac_f32_e32 v2, v8, v8
	s_waitcnt vmcnt(0)
	v_fmac_f32_e32 v10, s26, v2
	global_store_b64 v[6:7], v[10:11], off offset:512
.LBB1_25:
	s_or_b32 exec_lo, exec_lo, s0
	s_delay_alu instid0(SALU_CYCLE_1)
	s_and_not1_b32 s1, s1, exec_lo
	s_or_b32 exec_lo, exec_lo, s6
	s_and_saveexec_b32 s0, s1
	s_cbranch_execnz .LBB1_21
	s_branch .LBB1_22
	.section	.rodata,"a",@progbits
	.p2align	6, 0x0
	.amdhsa_kernel _ZL18rocblas_hpr_kernelILi64ELi16ELi2EfPK19rocblas_complex_numIfEPS1_EvbiT2_T3_lllT4_lli
		.amdhsa_group_segment_fixed_size 0
		.amdhsa_private_segment_fixed_size 0
		.amdhsa_kernarg_size 76
		.amdhsa_user_sgpr_count 13
		.amdhsa_user_sgpr_dispatch_ptr 0
		.amdhsa_user_sgpr_queue_ptr 0
		.amdhsa_user_sgpr_kernarg_segment_ptr 1
		.amdhsa_user_sgpr_dispatch_id 0
		.amdhsa_user_sgpr_private_segment_size 0
		.amdhsa_wavefront_size32 1
		.amdhsa_uses_dynamic_stack 0
		.amdhsa_enable_private_segment 0
		.amdhsa_system_sgpr_workgroup_id_x 1
		.amdhsa_system_sgpr_workgroup_id_y 1
		.amdhsa_system_sgpr_workgroup_id_z 1
		.amdhsa_system_sgpr_workgroup_info 0
		.amdhsa_system_vgpr_workitem_id 1
		.amdhsa_next_free_vgpr 15
		.amdhsa_next_free_sgpr 28
		.amdhsa_reserve_vcc 1
		.amdhsa_float_round_mode_32 0
		.amdhsa_float_round_mode_16_64 0
		.amdhsa_float_denorm_mode_32 3
		.amdhsa_float_denorm_mode_16_64 3
		.amdhsa_dx10_clamp 1
		.amdhsa_ieee_mode 1
		.amdhsa_fp16_overflow 0
		.amdhsa_workgroup_processor_mode 1
		.amdhsa_memory_ordered 1
		.amdhsa_forward_progress 0
		.amdhsa_shared_vgpr_count 0
		.amdhsa_exception_fp_ieee_invalid_op 0
		.amdhsa_exception_fp_denorm_src 0
		.amdhsa_exception_fp_ieee_div_zero 0
		.amdhsa_exception_fp_ieee_overflow 0
		.amdhsa_exception_fp_ieee_underflow 0
		.amdhsa_exception_fp_ieee_inexact 0
		.amdhsa_exception_int_div_zero 0
	.end_amdhsa_kernel
	.section	.text._ZL18rocblas_hpr_kernelILi64ELi16ELi2EfPK19rocblas_complex_numIfEPS1_EvbiT2_T3_lllT4_lli,"axG",@progbits,_ZL18rocblas_hpr_kernelILi64ELi16ELi2EfPK19rocblas_complex_numIfEPS1_EvbiT2_T3_lllT4_lli,comdat
.Lfunc_end1:
	.size	_ZL18rocblas_hpr_kernelILi64ELi16ELi2EfPK19rocblas_complex_numIfEPS1_EvbiT2_T3_lllT4_lli, .Lfunc_end1-_ZL18rocblas_hpr_kernelILi64ELi16ELi2EfPK19rocblas_complex_numIfEPS1_EvbiT2_T3_lllT4_lli
                                        ; -- End function
	.section	.AMDGPU.csdata,"",@progbits
; Kernel info:
; codeLenInByte = 1280
; NumSgprs: 30
; NumVgprs: 15
; ScratchSize: 0
; MemoryBound: 0
; FloatMode: 240
; IeeeMode: 1
; LDSByteSize: 0 bytes/workgroup (compile time only)
; SGPRBlocks: 3
; VGPRBlocks: 1
; NumSGPRsForWavesPerEU: 30
; NumVGPRsForWavesPerEU: 15
; Occupancy: 16
; WaveLimiterHint : 0
; COMPUTE_PGM_RSRC2:SCRATCH_EN: 0
; COMPUTE_PGM_RSRC2:USER_SGPR: 13
; COMPUTE_PGM_RSRC2:TRAP_HANDLER: 0
; COMPUTE_PGM_RSRC2:TGID_X_EN: 1
; COMPUTE_PGM_RSRC2:TGID_Y_EN: 1
; COMPUTE_PGM_RSRC2:TGID_Z_EN: 1
; COMPUTE_PGM_RSRC2:TIDIG_COMP_CNT: 1
	.section	.text._ZL18rocblas_hpr_kernelILi64ELi16ELi2EPKdPK19rocblas_complex_numIdEPS3_EvbiT2_T3_lllT4_lli,"axG",@progbits,_ZL18rocblas_hpr_kernelILi64ELi16ELi2EPKdPK19rocblas_complex_numIdEPS3_EvbiT2_T3_lllT4_lli,comdat
	.globl	_ZL18rocblas_hpr_kernelILi64ELi16ELi2EPKdPK19rocblas_complex_numIdEPS3_EvbiT2_T3_lllT4_lli ; -- Begin function _ZL18rocblas_hpr_kernelILi64ELi16ELi2EPKdPK19rocblas_complex_numIdEPS3_EvbiT2_T3_lllT4_lli
	.p2align	8
	.type	_ZL18rocblas_hpr_kernelILi64ELi16ELi2EPKdPK19rocblas_complex_numIdEPS3_EvbiT2_T3_lllT4_lli,@function
_ZL18rocblas_hpr_kernelILi64ELi16ELi2EPKdPK19rocblas_complex_numIdEPS3_EvbiT2_T3_lllT4_lli: ; @_ZL18rocblas_hpr_kernelILi64ELi16ELi2EPKdPK19rocblas_complex_numIdEPS3_EvbiT2_T3_lllT4_lli
; %bb.0:
	s_load_b512 s[16:31], s[0:1], 0x8
	s_waitcnt lgkmcnt(0)
	s_load_b64 s[2:3], s[16:17], 0x0
	s_waitcnt lgkmcnt(0)
	v_cmp_eq_f64_e64 s4, s[2:3], 0
	s_delay_alu instid0(VALU_DEP_1)
	s_and_b32 vcc_lo, exec_lo, s4
	s_cbranch_vccnz .LBB2_22
; %bb.1:
	s_load_b64 s[4:5], s[0:1], 0x0
	v_and_b32_e32 v1, 0x3ff, v0
	v_bfe_u32 v0, v0, 10, 10
	s_delay_alu instid0(VALU_DEP_2) | instskip(NEXT) | instid1(VALU_DEP_2)
	v_lshl_add_u32 v5, s13, 7, v1
	v_lshl_add_u32 v2, s14, 4, v0
	s_waitcnt lgkmcnt(0)
	s_bitcmp1_b32 s4, 0
	s_cselect_b32 s0, -1, 0
	s_delay_alu instid0(SALU_CYCLE_1)
	s_xor_b32 s9, s0, -1
	s_mov_b32 s0, -1
	s_and_b32 vcc_lo, exec_lo, s9
	s_cbranch_vccz .LBB2_3
; %bb.2:
	s_lshl_b32 s0, s5, 1
	s_delay_alu instid0(SALU_CYCLE_1) | instskip(NEXT) | instid1(VALU_DEP_1)
	v_sub_nc_u32_e32 v3, s0, v2
	v_mad_u64_u32 v[0:1], null, v2, v3, v[2:3]
	s_delay_alu instid0(VALU_DEP_1) | instskip(NEXT) | instid1(VALU_DEP_1)
	v_lshrrev_b32_e32 v1, 31, v0
	v_add_nc_u32_e32 v0, v0, v1
	v_sub_nc_u32_e32 v1, v5, v2
	s_delay_alu instid0(VALU_DEP_2) | instskip(NEXT) | instid1(VALU_DEP_1)
	v_ashrrev_i32_e32 v0, 1, v0
	v_add_nc_u32_e32 v0, v1, v0
	s_cbranch_execz .LBB2_4
	s_branch .LBB2_5
.LBB2_3:
                                        ; implicit-def: $vgpr0
	s_and_not1_b32 vcc_lo, exec_lo, s0
	s_cbranch_vccnz .LBB2_5
.LBB2_4:
	v_mad_u64_u32 v[0:1], null, v2, v2, v[2:3]
	s_delay_alu instid0(VALU_DEP_1) | instskip(NEXT) | instid1(VALU_DEP_1)
	v_lshrrev_b32_e32 v1, 31, v0
	v_add_nc_u32_e32 v0, v0, v1
	s_delay_alu instid0(VALU_DEP_1) | instskip(NEXT) | instid1(VALU_DEP_1)
	v_ashrrev_i32_e32 v0, 1, v0
	v_add_nc_u32_e32 v0, v0, v5
.LBB2_5:
	v_ashrrev_i32_e32 v1, 31, v2
	s_mul_i32 s1, s15, s25
	s_mul_hi_u32 s4, s15, s24
	s_mul_i32 s0, s15, s24
	s_add_i32 s1, s4, s1
	v_mul_lo_u32 v6, v2, s23
	s_lshl_b64 s[0:1], s[0:1], 4
	v_mul_lo_u32 v1, v1, s22
	v_mad_u64_u32 v[3:4], null, v2, s22, 0
	s_add_u32 s4, s18, s0
	s_addc_u32 s6, s19, s1
	s_lshl_b64 s[0:1], s[20:21], 4
	s_mul_i32 s10, s15, s31
	s_add_u32 s7, s4, s0
	s_mul_hi_u32 s0, s15, s30
	s_addc_u32 s8, s6, s1
	s_add_i32 s1, s0, s10
	s_mul_i32 s0, s15, s30
	v_add3_u32 v4, v4, v6, v1
	s_lshl_b64 s[0:1], s[0:1], 4
	s_delay_alu instid0(SALU_CYCLE_1)
	s_add_u32 s4, s26, s0
	s_addc_u32 s6, s27, s1
	s_lshl_b64 s[0:1], s[28:29], 4
	v_lshlrev_b64 v[3:4], 4, v[3:4]
	s_add_u32 s4, s4, s0
	v_cmp_gt_i32_e64 s0, s5, v2
	s_addc_u32 s6, s6, s1
	s_and_b32 vcc_lo, exec_lo, s9
	s_cbranch_vccz .LBB2_7
; %bb.6:
	v_cmp_le_i32_e32 vcc_lo, s5, v5
	v_cmp_le_i32_e64 s1, v5, v2
	s_mov_b32 s10, -1
	s_delay_alu instid0(VALU_DEP_1) | instskip(NEXT) | instid1(SALU_CYCLE_1)
	s_or_b32 s1, s1, vcc_lo
	s_and_b32 s1, s1, exec_lo
	s_cbranch_execz .LBB2_8
	s_branch .LBB2_9
.LBB2_7:
	s_mov_b32 s1, 0
	s_mov_b32 s10, 0
.LBB2_8:
	v_cmp_lt_i32_e32 vcc_lo, v5, v2
	s_and_not1_b32 s10, s10, exec_lo
	s_and_not1_b32 s1, s1, exec_lo
	s_and_b32 s11, vcc_lo, s0
	s_delay_alu instid0(SALU_CYCLE_1)
	s_xor_b32 s12, s11, -1
	s_and_b32 s11, s11, exec_lo
	s_and_b32 s12, s12, exec_lo
	s_or_b32 s10, s10, s11
	s_or_b32 s1, s1, s12
.LBB2_9:
	v_add_co_u32 v3, vcc_lo, s7, v3
	v_add_co_ci_u32_e32 v4, vcc_lo, s8, v4, vcc_lo
	s_and_saveexec_b32 s11, s1
	s_delay_alu instid0(SALU_CYCLE_1)
	s_xor_b32 s11, exec_lo, s11
	s_cbranch_execz .LBB2_13
; %bb.10:
	v_cmp_eq_u32_e32 vcc_lo, v5, v2
	v_cmp_gt_i32_e64 s1, s5, v5
	s_delay_alu instid0(VALU_DEP_1) | instskip(NEXT) | instid1(SALU_CYCLE_1)
	s_and_b32 s12, vcc_lo, s1
	s_and_saveexec_b32 s1, s12
	s_cbranch_execz .LBB2_12
; %bb.11:
	v_ashrrev_i32_e32 v1, 31, v5
	v_mul_lo_u32 v8, v5, s23
	v_mad_u64_u32 v[6:7], null, v5, s22, 0
	s_delay_alu instid0(VALU_DEP_3) | instskip(NEXT) | instid1(VALU_DEP_1)
	v_mul_lo_u32 v1, v1, s22
	v_add3_u32 v7, v7, v8, v1
	v_ashrrev_i32_e32 v1, 31, v0
	s_delay_alu instid0(VALU_DEP_2) | instskip(NEXT) | instid1(VALU_DEP_2)
	v_lshlrev_b64 v[6:7], 4, v[6:7]
	v_lshlrev_b64 v[10:11], 4, v[0:1]
	s_delay_alu instid0(VALU_DEP_2) | instskip(NEXT) | instid1(VALU_DEP_3)
	v_add_co_u32 v6, vcc_lo, s7, v6
	v_add_co_ci_u32_e32 v7, vcc_lo, s8, v7, vcc_lo
	s_delay_alu instid0(VALU_DEP_3) | instskip(NEXT) | instid1(VALU_DEP_4)
	v_add_co_u32 v10, vcc_lo, s4, v10
	v_add_co_ci_u32_e32 v11, vcc_lo, s6, v11, vcc_lo
	global_load_b128 v[6:9], v[6:7], off
	global_load_b64 v[12:13], v[10:11], off
	s_waitcnt vmcnt(1)
	v_mul_f64 v[8:9], v[8:9], v[8:9]
	s_delay_alu instid0(VALU_DEP_1) | instskip(SKIP_1) | instid1(VALU_DEP_1)
	v_fma_f64 v[6:7], v[6:7], v[6:7], v[8:9]
	v_mov_b32_e32 v8, 0
	v_mov_b32_e32 v9, v8
	s_waitcnt vmcnt(0)
	s_delay_alu instid0(VALU_DEP_3)
	v_fma_f64 v[6:7], s[2:3], v[6:7], v[12:13]
	global_store_b128 v[10:11], v[6:9], off
.LBB2_12:
	s_or_b32 exec_lo, exec_lo, s1
	s_delay_alu instid0(SALU_CYCLE_1)
	s_and_not1_b32 s10, s10, exec_lo
.LBB2_13:
	s_or_b32 exec_lo, exec_lo, s11
	v_ashrrev_i32_e32 v1, 31, v0
	s_and_saveexec_b32 s1, s10
	s_cbranch_execz .LBB2_15
; %bb.14:
	v_ashrrev_i32_e32 v8, 31, v5
	v_mul_lo_u32 v9, v5, s23
	v_mad_u64_u32 v[6:7], null, v5, s22, 0
	v_lshlrev_b64 v[14:15], 4, v[0:1]
	s_delay_alu instid0(VALU_DEP_4) | instskip(NEXT) | instid1(VALU_DEP_1)
	v_mul_lo_u32 v8, v8, s22
	v_add3_u32 v7, v7, v9, v8
	s_delay_alu instid0(VALU_DEP_1) | instskip(NEXT) | instid1(VALU_DEP_1)
	v_lshlrev_b64 v[6:7], 4, v[6:7]
	v_add_co_u32 v6, vcc_lo, s7, v6
	s_delay_alu instid0(VALU_DEP_2)
	v_add_co_ci_u32_e32 v7, vcc_lo, s8, v7, vcc_lo
	v_add_co_u32 v18, vcc_lo, s4, v14
	v_add_co_ci_u32_e32 v19, vcc_lo, s6, v15, vcc_lo
	s_clause 0x1
	global_load_b128 v[6:9], v[6:7], off
	global_load_b128 v[10:13], v[3:4], off
	;; [unrolled: 1-line block ×3, first 2 shown]
	s_waitcnt vmcnt(2)
	v_mul_f64 v[8:9], s[2:3], v[8:9]
	v_mul_f64 v[6:7], s[2:3], v[6:7]
	s_waitcnt vmcnt(1)
	s_delay_alu instid0(VALU_DEP_2) | instskip(NEXT) | instid1(VALU_DEP_2)
	v_mul_f64 v[20:21], v[8:9], v[12:13]
	v_mul_f64 v[12:13], v[6:7], v[12:13]
	s_delay_alu instid0(VALU_DEP_2) | instskip(NEXT) | instid1(VALU_DEP_2)
	v_fma_f64 v[6:7], v[6:7], v[10:11], v[20:21]
	v_fma_f64 v[8:9], v[8:9], v[10:11], -v[12:13]
	s_waitcnt vmcnt(0)
	s_delay_alu instid0(VALU_DEP_2) | instskip(NEXT) | instid1(VALU_DEP_2)
	v_add_f64 v[6:7], v[14:15], v[6:7]
	v_add_f64 v[8:9], v[16:17], v[8:9]
	global_store_b128 v[18:19], v[6:9], off
.LBB2_15:
	s_or_b32 exec_lo, exec_lo, s1
	v_add_nc_u32_e32 v5, 64, v5
	s_and_not1_b32 vcc_lo, exec_lo, s9
	s_delay_alu instid0(VALU_DEP_1)
	v_cmp_gt_i32_e64 s1, s5, v5
	s_cbranch_vccnz .LBB2_17
; %bb.16:
	v_cmp_lt_i32_e32 vcc_lo, v2, v5
	s_delay_alu instid0(VALU_DEP_2) | instskip(NEXT) | instid1(SALU_CYCLE_1)
	s_and_b32 s1, s1, vcc_lo
	s_xor_b32 s10, s1, -1
	s_and_b32 s1, s1, exec_lo
	s_and_b32 s10, s10, exec_lo
	s_cbranch_execz .LBB2_18
	s_branch .LBB2_19
.LBB2_17:
	s_mov_b32 s10, 0
	s_mov_b32 s1, 0
.LBB2_18:
	v_cmp_ge_i32_e32 vcc_lo, v5, v2
	s_xor_b32 s0, s0, -1
	s_and_not1_b32 s9, s10, exec_lo
	s_or_b32 s1, s1, exec_lo
	s_or_b32 s0, s0, vcc_lo
	s_delay_alu instid0(SALU_CYCLE_1) | instskip(NEXT) | instid1(SALU_CYCLE_1)
	s_and_b32 s0, s0, exec_lo
	s_or_b32 s10, s9, s0
.LBB2_19:
	s_delay_alu instid0(SALU_CYCLE_1)
	s_and_saveexec_b32 s9, s10
	s_cbranch_execnz .LBB2_23
; %bb.20:
	s_or_b32 exec_lo, exec_lo, s9
	s_and_saveexec_b32 s0, s1
	s_cbranch_execz .LBB2_22
.LBB2_21:
	v_ashrrev_i32_e32 v2, 31, v5
	v_mul_lo_u32 v8, v5, s23
	v_mad_u64_u32 v[6:7], null, v5, s22, 0
	v_lshlrev_b64 v[0:1], 4, v[0:1]
	s_delay_alu instid0(VALU_DEP_4) | instskip(NEXT) | instid1(VALU_DEP_1)
	v_mul_lo_u32 v2, v2, s22
	v_add3_u32 v7, v7, v8, v2
	s_delay_alu instid0(VALU_DEP_1) | instskip(NEXT) | instid1(VALU_DEP_1)
	v_lshlrev_b64 v[5:6], 4, v[6:7]
	v_add_co_u32 v5, vcc_lo, s7, v5
	s_delay_alu instid0(VALU_DEP_2)
	v_add_co_ci_u32_e32 v6, vcc_lo, s8, v6, vcc_lo
	v_add_co_u32 v13, vcc_lo, s4, v0
	v_add_co_ci_u32_e32 v14, vcc_lo, s6, v1, vcc_lo
	s_clause 0x1
	global_load_b128 v[5:8], v[5:6], off
	global_load_b128 v[9:12], v[3:4], off
	global_load_b128 v[0:3], v[13:14], off offset:1024
	s_waitcnt vmcnt(2)
	v_mul_f64 v[7:8], s[2:3], v[7:8]
	v_mul_f64 v[4:5], s[2:3], v[5:6]
	s_waitcnt vmcnt(1)
	s_delay_alu instid0(VALU_DEP_2) | instskip(NEXT) | instid1(VALU_DEP_2)
	v_mul_f64 v[15:16], v[7:8], v[11:12]
	v_mul_f64 v[11:12], v[4:5], v[11:12]
	s_delay_alu instid0(VALU_DEP_2) | instskip(NEXT) | instid1(VALU_DEP_2)
	v_fma_f64 v[4:5], v[4:5], v[9:10], v[15:16]
	v_fma_f64 v[6:7], v[7:8], v[9:10], -v[11:12]
	s_waitcnt vmcnt(0)
	s_delay_alu instid0(VALU_DEP_2) | instskip(NEXT) | instid1(VALU_DEP_2)
	v_add_f64 v[0:1], v[0:1], v[4:5]
	v_add_f64 v[2:3], v[2:3], v[6:7]
	global_store_b128 v[13:14], v[0:3], off offset:1024
.LBB2_22:
	s_nop 0
	s_sendmsg sendmsg(MSG_DEALLOC_VGPRS)
	s_endpgm
.LBB2_23:
	v_cmp_eq_u32_e32 vcc_lo, v5, v2
	v_cmp_gt_i32_e64 s0, s5, v5
	s_delay_alu instid0(VALU_DEP_1) | instskip(NEXT) | instid1(SALU_CYCLE_1)
	s_and_b32 s5, vcc_lo, s0
	s_and_saveexec_b32 s0, s5
	s_cbranch_execz .LBB2_25
; %bb.24:
	global_load_b128 v[6:9], v[3:4], off
	v_lshlrev_b64 v[10:11], 4, v[0:1]
	s_delay_alu instid0(VALU_DEP_1) | instskip(NEXT) | instid1(VALU_DEP_2)
	v_add_co_u32 v10, vcc_lo, s4, v10
	v_add_co_ci_u32_e32 v11, vcc_lo, s6, v11, vcc_lo
	global_load_b64 v[12:13], v[10:11], off offset:1024
	s_waitcnt vmcnt(1)
	v_mul_f64 v[8:9], v[8:9], v[8:9]
	s_delay_alu instid0(VALU_DEP_1) | instskip(SKIP_1) | instid1(VALU_DEP_1)
	v_fma_f64 v[6:7], v[6:7], v[6:7], v[8:9]
	v_mov_b32_e32 v8, 0
	v_mov_b32_e32 v9, v8
	s_waitcnt vmcnt(0)
	s_delay_alu instid0(VALU_DEP_3)
	v_fma_f64 v[6:7], s[2:3], v[6:7], v[12:13]
	global_store_b128 v[10:11], v[6:9], off offset:1024
.LBB2_25:
	s_or_b32 exec_lo, exec_lo, s0
	s_delay_alu instid0(SALU_CYCLE_1)
	s_and_not1_b32 s1, s1, exec_lo
	s_or_b32 exec_lo, exec_lo, s9
	s_and_saveexec_b32 s0, s1
	s_cbranch_execnz .LBB2_21
	s_branch .LBB2_22
	.section	.rodata,"a",@progbits
	.p2align	6, 0x0
	.amdhsa_kernel _ZL18rocblas_hpr_kernelILi64ELi16ELi2EPKdPK19rocblas_complex_numIdEPS3_EvbiT2_T3_lllT4_lli
		.amdhsa_group_segment_fixed_size 0
		.amdhsa_private_segment_fixed_size 0
		.amdhsa_kernarg_size 76
		.amdhsa_user_sgpr_count 13
		.amdhsa_user_sgpr_dispatch_ptr 0
		.amdhsa_user_sgpr_queue_ptr 0
		.amdhsa_user_sgpr_kernarg_segment_ptr 1
		.amdhsa_user_sgpr_dispatch_id 0
		.amdhsa_user_sgpr_private_segment_size 0
		.amdhsa_wavefront_size32 1
		.amdhsa_uses_dynamic_stack 0
		.amdhsa_enable_private_segment 0
		.amdhsa_system_sgpr_workgroup_id_x 1
		.amdhsa_system_sgpr_workgroup_id_y 1
		.amdhsa_system_sgpr_workgroup_id_z 1
		.amdhsa_system_sgpr_workgroup_info 0
		.amdhsa_system_vgpr_workitem_id 1
		.amdhsa_next_free_vgpr 22
		.amdhsa_next_free_sgpr 32
		.amdhsa_reserve_vcc 1
		.amdhsa_float_round_mode_32 0
		.amdhsa_float_round_mode_16_64 0
		.amdhsa_float_denorm_mode_32 3
		.amdhsa_float_denorm_mode_16_64 3
		.amdhsa_dx10_clamp 1
		.amdhsa_ieee_mode 1
		.amdhsa_fp16_overflow 0
		.amdhsa_workgroup_processor_mode 1
		.amdhsa_memory_ordered 1
		.amdhsa_forward_progress 0
		.amdhsa_shared_vgpr_count 0
		.amdhsa_exception_fp_ieee_invalid_op 0
		.amdhsa_exception_fp_denorm_src 0
		.amdhsa_exception_fp_ieee_div_zero 0
		.amdhsa_exception_fp_ieee_overflow 0
		.amdhsa_exception_fp_ieee_underflow 0
		.amdhsa_exception_fp_ieee_inexact 0
		.amdhsa_exception_int_div_zero 0
	.end_amdhsa_kernel
	.section	.text._ZL18rocblas_hpr_kernelILi64ELi16ELi2EPKdPK19rocblas_complex_numIdEPS3_EvbiT2_T3_lllT4_lli,"axG",@progbits,_ZL18rocblas_hpr_kernelILi64ELi16ELi2EPKdPK19rocblas_complex_numIdEPS3_EvbiT2_T3_lllT4_lli,comdat
.Lfunc_end2:
	.size	_ZL18rocblas_hpr_kernelILi64ELi16ELi2EPKdPK19rocblas_complex_numIdEPS3_EvbiT2_T3_lllT4_lli, .Lfunc_end2-_ZL18rocblas_hpr_kernelILi64ELi16ELi2EPKdPK19rocblas_complex_numIdEPS3_EvbiT2_T3_lllT4_lli
                                        ; -- End function
	.section	.AMDGPU.csdata,"",@progbits
; Kernel info:
; codeLenInByte = 1408
; NumSgprs: 34
; NumVgprs: 22
; ScratchSize: 0
; MemoryBound: 0
; FloatMode: 240
; IeeeMode: 1
; LDSByteSize: 0 bytes/workgroup (compile time only)
; SGPRBlocks: 4
; VGPRBlocks: 2
; NumSGPRsForWavesPerEU: 34
; NumVGPRsForWavesPerEU: 22
; Occupancy: 16
; WaveLimiterHint : 0
; COMPUTE_PGM_RSRC2:SCRATCH_EN: 0
; COMPUTE_PGM_RSRC2:USER_SGPR: 13
; COMPUTE_PGM_RSRC2:TRAP_HANDLER: 0
; COMPUTE_PGM_RSRC2:TGID_X_EN: 1
; COMPUTE_PGM_RSRC2:TGID_Y_EN: 1
; COMPUTE_PGM_RSRC2:TGID_Z_EN: 1
; COMPUTE_PGM_RSRC2:TIDIG_COMP_CNT: 1
	.section	.text._ZL18rocblas_hpr_kernelILi64ELi16ELi2EdPK19rocblas_complex_numIdEPS1_EvbiT2_T3_lllT4_lli,"axG",@progbits,_ZL18rocblas_hpr_kernelILi64ELi16ELi2EdPK19rocblas_complex_numIdEPS1_EvbiT2_T3_lllT4_lli,comdat
	.globl	_ZL18rocblas_hpr_kernelILi64ELi16ELi2EdPK19rocblas_complex_numIdEPS1_EvbiT2_T3_lllT4_lli ; -- Begin function _ZL18rocblas_hpr_kernelILi64ELi16ELi2EdPK19rocblas_complex_numIdEPS1_EvbiT2_T3_lllT4_lli
	.p2align	8
	.type	_ZL18rocblas_hpr_kernelILi64ELi16ELi2EdPK19rocblas_complex_numIdEPS1_EvbiT2_T3_lllT4_lli,@function
_ZL18rocblas_hpr_kernelILi64ELi16ELi2EdPK19rocblas_complex_numIdEPS1_EvbiT2_T3_lllT4_lli: ; @_ZL18rocblas_hpr_kernelILi64ELi16ELi2EdPK19rocblas_complex_numIdEPS1_EvbiT2_T3_lllT4_lli
; %bb.0:
	s_load_b512 s[16:31], s[0:1], 0x8
	s_waitcnt lgkmcnt(0)
	v_cmp_eq_f64_e64 s2, s[16:17], 0
	s_delay_alu instid0(VALU_DEP_1)
	s_and_b32 vcc_lo, exec_lo, s2
	s_cbranch_vccnz .LBB3_22
; %bb.1:
	s_load_b64 s[2:3], s[0:1], 0x0
	v_and_b32_e32 v1, 0x3ff, v0
	v_bfe_u32 v0, v0, 10, 10
	s_delay_alu instid0(VALU_DEP_2) | instskip(NEXT) | instid1(VALU_DEP_2)
	v_lshl_add_u32 v5, s13, 7, v1
	v_lshl_add_u32 v2, s14, 4, v0
	s_waitcnt lgkmcnt(0)
	s_bitcmp1_b32 s2, 0
	s_cselect_b32 s0, -1, 0
	s_delay_alu instid0(SALU_CYCLE_1)
	s_xor_b32 s7, s0, -1
	s_mov_b32 s0, -1
	s_and_b32 vcc_lo, exec_lo, s7
	s_cbranch_vccz .LBB3_3
; %bb.2:
	s_lshl_b32 s0, s3, 1
	s_delay_alu instid0(SALU_CYCLE_1) | instskip(NEXT) | instid1(VALU_DEP_1)
	v_sub_nc_u32_e32 v3, s0, v2
	v_mad_u64_u32 v[0:1], null, v2, v3, v[2:3]
	s_delay_alu instid0(VALU_DEP_1) | instskip(NEXT) | instid1(VALU_DEP_1)
	v_lshrrev_b32_e32 v1, 31, v0
	v_add_nc_u32_e32 v0, v0, v1
	v_sub_nc_u32_e32 v1, v5, v2
	s_delay_alu instid0(VALU_DEP_2) | instskip(NEXT) | instid1(VALU_DEP_1)
	v_ashrrev_i32_e32 v0, 1, v0
	v_add_nc_u32_e32 v0, v1, v0
	s_cbranch_execz .LBB3_4
	s_branch .LBB3_5
.LBB3_3:
                                        ; implicit-def: $vgpr0
	s_and_not1_b32 vcc_lo, exec_lo, s0
	s_cbranch_vccnz .LBB3_5
.LBB3_4:
	v_mad_u64_u32 v[0:1], null, v2, v2, v[2:3]
	s_delay_alu instid0(VALU_DEP_1) | instskip(NEXT) | instid1(VALU_DEP_1)
	v_lshrrev_b32_e32 v1, 31, v0
	v_add_nc_u32_e32 v0, v0, v1
	s_delay_alu instid0(VALU_DEP_1) | instskip(NEXT) | instid1(VALU_DEP_1)
	v_ashrrev_i32_e32 v0, 1, v0
	v_add_nc_u32_e32 v0, v0, v5
.LBB3_5:
	v_ashrrev_i32_e32 v1, 31, v2
	s_mul_i32 s1, s15, s25
	s_mul_hi_u32 s2, s15, s24
	s_mul_i32 s0, s15, s24
	s_add_i32 s1, s2, s1
	v_mul_lo_u32 v6, v2, s23
	s_lshl_b64 s[0:1], s[0:1], 4
	v_mul_lo_u32 v1, v1, s22
	v_mad_u64_u32 v[3:4], null, v2, s22, 0
	s_add_u32 s2, s18, s0
	s_addc_u32 s4, s19, s1
	s_lshl_b64 s[0:1], s[20:21], 4
	s_mul_i32 s8, s15, s31
	s_add_u32 s5, s2, s0
	s_mul_hi_u32 s0, s15, s30
	s_addc_u32 s6, s4, s1
	s_add_i32 s1, s0, s8
	s_mul_i32 s0, s15, s30
	v_add3_u32 v4, v4, v6, v1
	s_lshl_b64 s[0:1], s[0:1], 4
	s_delay_alu instid0(SALU_CYCLE_1)
	s_add_u32 s2, s26, s0
	s_addc_u32 s4, s27, s1
	s_lshl_b64 s[0:1], s[28:29], 4
	v_lshlrev_b64 v[3:4], 4, v[3:4]
	s_add_u32 s2, s2, s0
	v_cmp_gt_i32_e64 s0, s3, v2
	s_addc_u32 s4, s4, s1
	s_and_b32 vcc_lo, exec_lo, s7
	s_cbranch_vccz .LBB3_7
; %bb.6:
	v_cmp_le_i32_e32 vcc_lo, s3, v5
	v_cmp_le_i32_e64 s1, v5, v2
	s_mov_b32 s8, -1
	s_delay_alu instid0(VALU_DEP_1) | instskip(NEXT) | instid1(SALU_CYCLE_1)
	s_or_b32 s1, s1, vcc_lo
	s_and_b32 s1, s1, exec_lo
	s_cbranch_execz .LBB3_8
	s_branch .LBB3_9
.LBB3_7:
	s_mov_b32 s1, 0
	s_mov_b32 s8, 0
.LBB3_8:
	v_cmp_lt_i32_e32 vcc_lo, v5, v2
	s_and_not1_b32 s8, s8, exec_lo
	s_and_not1_b32 s1, s1, exec_lo
	s_and_b32 s9, vcc_lo, s0
	s_delay_alu instid0(SALU_CYCLE_1)
	s_xor_b32 s10, s9, -1
	s_and_b32 s9, s9, exec_lo
	s_and_b32 s10, s10, exec_lo
	s_or_b32 s8, s8, s9
	s_or_b32 s1, s1, s10
.LBB3_9:
	v_add_co_u32 v3, vcc_lo, s5, v3
	v_add_co_ci_u32_e32 v4, vcc_lo, s6, v4, vcc_lo
	s_and_saveexec_b32 s9, s1
	s_delay_alu instid0(SALU_CYCLE_1)
	s_xor_b32 s9, exec_lo, s9
	s_cbranch_execz .LBB3_13
; %bb.10:
	v_cmp_eq_u32_e32 vcc_lo, v5, v2
	v_cmp_gt_i32_e64 s1, s3, v5
	s_delay_alu instid0(VALU_DEP_1) | instskip(NEXT) | instid1(SALU_CYCLE_1)
	s_and_b32 s10, vcc_lo, s1
	s_and_saveexec_b32 s1, s10
	s_cbranch_execz .LBB3_12
; %bb.11:
	v_ashrrev_i32_e32 v1, 31, v5
	v_mul_lo_u32 v8, v5, s23
	v_mad_u64_u32 v[6:7], null, v5, s22, 0
	s_delay_alu instid0(VALU_DEP_3) | instskip(NEXT) | instid1(VALU_DEP_1)
	v_mul_lo_u32 v1, v1, s22
	v_add3_u32 v7, v7, v8, v1
	v_ashrrev_i32_e32 v1, 31, v0
	s_delay_alu instid0(VALU_DEP_2) | instskip(NEXT) | instid1(VALU_DEP_2)
	v_lshlrev_b64 v[6:7], 4, v[6:7]
	v_lshlrev_b64 v[10:11], 4, v[0:1]
	s_delay_alu instid0(VALU_DEP_2) | instskip(NEXT) | instid1(VALU_DEP_3)
	v_add_co_u32 v6, vcc_lo, s5, v6
	v_add_co_ci_u32_e32 v7, vcc_lo, s6, v7, vcc_lo
	s_delay_alu instid0(VALU_DEP_3) | instskip(NEXT) | instid1(VALU_DEP_4)
	v_add_co_u32 v10, vcc_lo, s2, v10
	v_add_co_ci_u32_e32 v11, vcc_lo, s4, v11, vcc_lo
	global_load_b128 v[6:9], v[6:7], off
	global_load_b64 v[12:13], v[10:11], off
	s_waitcnt vmcnt(1)
	v_mul_f64 v[8:9], v[8:9], v[8:9]
	s_delay_alu instid0(VALU_DEP_1) | instskip(SKIP_1) | instid1(VALU_DEP_1)
	v_fma_f64 v[6:7], v[6:7], v[6:7], v[8:9]
	v_mov_b32_e32 v8, 0
	v_mov_b32_e32 v9, v8
	s_waitcnt vmcnt(0)
	s_delay_alu instid0(VALU_DEP_3)
	v_fma_f64 v[6:7], v[6:7], s[16:17], v[12:13]
	global_store_b128 v[10:11], v[6:9], off
.LBB3_12:
	s_or_b32 exec_lo, exec_lo, s1
	s_delay_alu instid0(SALU_CYCLE_1)
	s_and_not1_b32 s8, s8, exec_lo
.LBB3_13:
	s_or_b32 exec_lo, exec_lo, s9
	v_ashrrev_i32_e32 v1, 31, v0
	s_and_saveexec_b32 s1, s8
	s_cbranch_execz .LBB3_15
; %bb.14:
	v_ashrrev_i32_e32 v8, 31, v5
	v_mul_lo_u32 v9, v5, s23
	v_mad_u64_u32 v[6:7], null, v5, s22, 0
	v_lshlrev_b64 v[14:15], 4, v[0:1]
	s_delay_alu instid0(VALU_DEP_4) | instskip(NEXT) | instid1(VALU_DEP_1)
	v_mul_lo_u32 v8, v8, s22
	v_add3_u32 v7, v7, v9, v8
	s_delay_alu instid0(VALU_DEP_1) | instskip(NEXT) | instid1(VALU_DEP_1)
	v_lshlrev_b64 v[6:7], 4, v[6:7]
	v_add_co_u32 v6, vcc_lo, s5, v6
	s_delay_alu instid0(VALU_DEP_2)
	v_add_co_ci_u32_e32 v7, vcc_lo, s6, v7, vcc_lo
	v_add_co_u32 v18, vcc_lo, s2, v14
	v_add_co_ci_u32_e32 v19, vcc_lo, s4, v15, vcc_lo
	s_clause 0x1
	global_load_b128 v[6:9], v[6:7], off
	global_load_b128 v[10:13], v[3:4], off
	;; [unrolled: 1-line block ×3, first 2 shown]
	s_waitcnt vmcnt(2)
	v_mul_f64 v[8:9], v[8:9], s[16:17]
	v_mul_f64 v[6:7], v[6:7], s[16:17]
	s_waitcnt vmcnt(1)
	s_delay_alu instid0(VALU_DEP_2) | instskip(NEXT) | instid1(VALU_DEP_2)
	v_mul_f64 v[20:21], v[8:9], v[12:13]
	v_mul_f64 v[12:13], v[6:7], v[12:13]
	s_delay_alu instid0(VALU_DEP_2) | instskip(NEXT) | instid1(VALU_DEP_2)
	v_fma_f64 v[6:7], v[6:7], v[10:11], v[20:21]
	v_fma_f64 v[8:9], v[8:9], v[10:11], -v[12:13]
	s_waitcnt vmcnt(0)
	s_delay_alu instid0(VALU_DEP_2) | instskip(NEXT) | instid1(VALU_DEP_2)
	v_add_f64 v[6:7], v[14:15], v[6:7]
	v_add_f64 v[8:9], v[16:17], v[8:9]
	global_store_b128 v[18:19], v[6:9], off
.LBB3_15:
	s_or_b32 exec_lo, exec_lo, s1
	v_add_nc_u32_e32 v5, 64, v5
	s_and_not1_b32 vcc_lo, exec_lo, s7
	s_delay_alu instid0(VALU_DEP_1)
	v_cmp_gt_i32_e64 s1, s3, v5
	s_cbranch_vccnz .LBB3_17
; %bb.16:
	v_cmp_lt_i32_e32 vcc_lo, v2, v5
	s_delay_alu instid0(VALU_DEP_2) | instskip(NEXT) | instid1(SALU_CYCLE_1)
	s_and_b32 s1, s1, vcc_lo
	s_xor_b32 s8, s1, -1
	s_and_b32 s1, s1, exec_lo
	s_and_b32 s8, s8, exec_lo
	s_cbranch_execz .LBB3_18
	s_branch .LBB3_19
.LBB3_17:
	s_mov_b32 s8, 0
	s_mov_b32 s1, 0
.LBB3_18:
	v_cmp_ge_i32_e32 vcc_lo, v5, v2
	s_xor_b32 s0, s0, -1
	s_and_not1_b32 s7, s8, exec_lo
	s_or_b32 s1, s1, exec_lo
	s_or_b32 s0, s0, vcc_lo
	s_delay_alu instid0(SALU_CYCLE_1) | instskip(NEXT) | instid1(SALU_CYCLE_1)
	s_and_b32 s0, s0, exec_lo
	s_or_b32 s8, s7, s0
.LBB3_19:
	s_delay_alu instid0(SALU_CYCLE_1)
	s_and_saveexec_b32 s7, s8
	s_cbranch_execnz .LBB3_23
; %bb.20:
	s_or_b32 exec_lo, exec_lo, s7
	s_and_saveexec_b32 s0, s1
	s_cbranch_execz .LBB3_22
.LBB3_21:
	v_ashrrev_i32_e32 v2, 31, v5
	v_mul_lo_u32 v8, v5, s23
	v_mad_u64_u32 v[6:7], null, v5, s22, 0
	v_lshlrev_b64 v[0:1], 4, v[0:1]
	s_delay_alu instid0(VALU_DEP_4) | instskip(NEXT) | instid1(VALU_DEP_1)
	v_mul_lo_u32 v2, v2, s22
	v_add3_u32 v7, v7, v8, v2
	s_delay_alu instid0(VALU_DEP_1) | instskip(NEXT) | instid1(VALU_DEP_1)
	v_lshlrev_b64 v[5:6], 4, v[6:7]
	v_add_co_u32 v5, vcc_lo, s5, v5
	s_delay_alu instid0(VALU_DEP_2)
	v_add_co_ci_u32_e32 v6, vcc_lo, s6, v6, vcc_lo
	v_add_co_u32 v13, vcc_lo, s2, v0
	v_add_co_ci_u32_e32 v14, vcc_lo, s4, v1, vcc_lo
	s_clause 0x1
	global_load_b128 v[5:8], v[5:6], off
	global_load_b128 v[9:12], v[3:4], off
	global_load_b128 v[0:3], v[13:14], off offset:1024
	s_waitcnt vmcnt(2)
	v_mul_f64 v[7:8], v[7:8], s[16:17]
	v_mul_f64 v[4:5], v[5:6], s[16:17]
	s_waitcnt vmcnt(1)
	s_delay_alu instid0(VALU_DEP_2) | instskip(NEXT) | instid1(VALU_DEP_2)
	v_mul_f64 v[15:16], v[7:8], v[11:12]
	v_mul_f64 v[11:12], v[4:5], v[11:12]
	s_delay_alu instid0(VALU_DEP_2) | instskip(NEXT) | instid1(VALU_DEP_2)
	v_fma_f64 v[4:5], v[4:5], v[9:10], v[15:16]
	v_fma_f64 v[6:7], v[7:8], v[9:10], -v[11:12]
	s_waitcnt vmcnt(0)
	s_delay_alu instid0(VALU_DEP_2) | instskip(NEXT) | instid1(VALU_DEP_2)
	v_add_f64 v[0:1], v[0:1], v[4:5]
	v_add_f64 v[2:3], v[2:3], v[6:7]
	global_store_b128 v[13:14], v[0:3], off offset:1024
.LBB3_22:
	s_nop 0
	s_sendmsg sendmsg(MSG_DEALLOC_VGPRS)
	s_endpgm
.LBB3_23:
	v_cmp_eq_u32_e32 vcc_lo, v5, v2
	v_cmp_gt_i32_e64 s0, s3, v5
	s_delay_alu instid0(VALU_DEP_1) | instskip(NEXT) | instid1(SALU_CYCLE_1)
	s_and_b32 s3, vcc_lo, s0
	s_and_saveexec_b32 s0, s3
	s_cbranch_execz .LBB3_25
; %bb.24:
	global_load_b128 v[6:9], v[3:4], off
	v_lshlrev_b64 v[10:11], 4, v[0:1]
	s_delay_alu instid0(VALU_DEP_1) | instskip(NEXT) | instid1(VALU_DEP_2)
	v_add_co_u32 v10, vcc_lo, s2, v10
	v_add_co_ci_u32_e32 v11, vcc_lo, s4, v11, vcc_lo
	global_load_b64 v[12:13], v[10:11], off offset:1024
	s_waitcnt vmcnt(1)
	v_mul_f64 v[8:9], v[8:9], v[8:9]
	s_delay_alu instid0(VALU_DEP_1) | instskip(SKIP_1) | instid1(VALU_DEP_1)
	v_fma_f64 v[6:7], v[6:7], v[6:7], v[8:9]
	v_mov_b32_e32 v8, 0
	v_mov_b32_e32 v9, v8
	s_waitcnt vmcnt(0)
	s_delay_alu instid0(VALU_DEP_3)
	v_fma_f64 v[6:7], v[6:7], s[16:17], v[12:13]
	global_store_b128 v[10:11], v[6:9], off offset:1024
.LBB3_25:
	s_or_b32 exec_lo, exec_lo, s0
	s_delay_alu instid0(SALU_CYCLE_1)
	s_and_not1_b32 s1, s1, exec_lo
	s_or_b32 exec_lo, exec_lo, s7
	s_and_saveexec_b32 s0, s1
	s_cbranch_execnz .LBB3_21
	s_branch .LBB3_22
	.section	.rodata,"a",@progbits
	.p2align	6, 0x0
	.amdhsa_kernel _ZL18rocblas_hpr_kernelILi64ELi16ELi2EdPK19rocblas_complex_numIdEPS1_EvbiT2_T3_lllT4_lli
		.amdhsa_group_segment_fixed_size 0
		.amdhsa_private_segment_fixed_size 0
		.amdhsa_kernarg_size 76
		.amdhsa_user_sgpr_count 13
		.amdhsa_user_sgpr_dispatch_ptr 0
		.amdhsa_user_sgpr_queue_ptr 0
		.amdhsa_user_sgpr_kernarg_segment_ptr 1
		.amdhsa_user_sgpr_dispatch_id 0
		.amdhsa_user_sgpr_private_segment_size 0
		.amdhsa_wavefront_size32 1
		.amdhsa_uses_dynamic_stack 0
		.amdhsa_enable_private_segment 0
		.amdhsa_system_sgpr_workgroup_id_x 1
		.amdhsa_system_sgpr_workgroup_id_y 1
		.amdhsa_system_sgpr_workgroup_id_z 1
		.amdhsa_system_sgpr_workgroup_info 0
		.amdhsa_system_vgpr_workitem_id 1
		.amdhsa_next_free_vgpr 22
		.amdhsa_next_free_sgpr 32
		.amdhsa_reserve_vcc 1
		.amdhsa_float_round_mode_32 0
		.amdhsa_float_round_mode_16_64 0
		.amdhsa_float_denorm_mode_32 3
		.amdhsa_float_denorm_mode_16_64 3
		.amdhsa_dx10_clamp 1
		.amdhsa_ieee_mode 1
		.amdhsa_fp16_overflow 0
		.amdhsa_workgroup_processor_mode 1
		.amdhsa_memory_ordered 1
		.amdhsa_forward_progress 0
		.amdhsa_shared_vgpr_count 0
		.amdhsa_exception_fp_ieee_invalid_op 0
		.amdhsa_exception_fp_denorm_src 0
		.amdhsa_exception_fp_ieee_div_zero 0
		.amdhsa_exception_fp_ieee_overflow 0
		.amdhsa_exception_fp_ieee_underflow 0
		.amdhsa_exception_fp_ieee_inexact 0
		.amdhsa_exception_int_div_zero 0
	.end_amdhsa_kernel
	.section	.text._ZL18rocblas_hpr_kernelILi64ELi16ELi2EdPK19rocblas_complex_numIdEPS1_EvbiT2_T3_lllT4_lli,"axG",@progbits,_ZL18rocblas_hpr_kernelILi64ELi16ELi2EdPK19rocblas_complex_numIdEPS1_EvbiT2_T3_lllT4_lli,comdat
.Lfunc_end3:
	.size	_ZL18rocblas_hpr_kernelILi64ELi16ELi2EdPK19rocblas_complex_numIdEPS1_EvbiT2_T3_lllT4_lli, .Lfunc_end3-_ZL18rocblas_hpr_kernelILi64ELi16ELi2EdPK19rocblas_complex_numIdEPS1_EvbiT2_T3_lllT4_lli
                                        ; -- End function
	.section	.AMDGPU.csdata,"",@progbits
; Kernel info:
; codeLenInByte = 1396
; NumSgprs: 34
; NumVgprs: 22
; ScratchSize: 0
; MemoryBound: 0
; FloatMode: 240
; IeeeMode: 1
; LDSByteSize: 0 bytes/workgroup (compile time only)
; SGPRBlocks: 4
; VGPRBlocks: 2
; NumSGPRsForWavesPerEU: 34
; NumVGPRsForWavesPerEU: 22
; Occupancy: 16
; WaveLimiterHint : 0
; COMPUTE_PGM_RSRC2:SCRATCH_EN: 0
; COMPUTE_PGM_RSRC2:USER_SGPR: 13
; COMPUTE_PGM_RSRC2:TRAP_HANDLER: 0
; COMPUTE_PGM_RSRC2:TGID_X_EN: 1
; COMPUTE_PGM_RSRC2:TGID_Y_EN: 1
; COMPUTE_PGM_RSRC2:TGID_Z_EN: 1
; COMPUTE_PGM_RSRC2:TIDIG_COMP_CNT: 1
	.section	.text._ZL18rocblas_hpr_kernelILi64ELi16ELi2EPKfPKPK19rocblas_complex_numIfEPKPS3_EvbiT2_T3_lllT4_lli,"axG",@progbits,_ZL18rocblas_hpr_kernelILi64ELi16ELi2EPKfPKPK19rocblas_complex_numIfEPKPS3_EvbiT2_T3_lllT4_lli,comdat
	.globl	_ZL18rocblas_hpr_kernelILi64ELi16ELi2EPKfPKPK19rocblas_complex_numIfEPKPS3_EvbiT2_T3_lllT4_lli ; -- Begin function _ZL18rocblas_hpr_kernelILi64ELi16ELi2EPKfPKPK19rocblas_complex_numIfEPKPS3_EvbiT2_T3_lllT4_lli
	.p2align	8
	.type	_ZL18rocblas_hpr_kernelILi64ELi16ELi2EPKfPKPK19rocblas_complex_numIfEPKPS3_EvbiT2_T3_lllT4_lli,@function
_ZL18rocblas_hpr_kernelILi64ELi16ELi2EPKfPKPK19rocblas_complex_numIfEPKPS3_EvbiT2_T3_lllT4_lli: ; @_ZL18rocblas_hpr_kernelILi64ELi16ELi2EPKfPKPK19rocblas_complex_numIfEPKPS3_EvbiT2_T3_lllT4_lli
; %bb.0:
	s_load_b256 s[4:11], s[0:1], 0x8
	s_mov_b32 s17, 0
	s_waitcnt lgkmcnt(0)
	s_load_b32 s12, s[4:5], 0x0
	s_waitcnt lgkmcnt(0)
	v_cmp_eq_f32_e64 s2, s12, 0
	s_delay_alu instid0(VALU_DEP_1)
	s_and_b32 vcc_lo, exec_lo, s2
	s_cbranch_vccnz .LBB4_22
; %bb.1:
	s_clause 0x1
	s_load_b64 s[4:5], s[0:1], 0x0
	s_load_b128 s[0:3], s[0:1], 0x30
	s_mov_b32 s16, s15
	v_and_b32_e32 v1, 0x3ff, v0
	v_bfe_u32 v0, v0, 10, 10
	s_delay_alu instid0(VALU_DEP_2) | instskip(NEXT) | instid1(VALU_DEP_2)
	v_lshl_add_u32 v5, s13, 7, v1
	v_lshl_add_u32 v2, s14, 4, v0
	s_waitcnt lgkmcnt(0)
	s_bitcmp1_b32 s4, 0
	s_cselect_b32 s4, -1, 0
	s_lshl_b64 s[16:17], s[16:17], 3
	s_xor_b32 s15, s4, -1
	s_add_u32 s6, s6, s16
	s_addc_u32 s7, s7, s17
	s_add_u32 s0, s0, s16
	s_addc_u32 s1, s1, s17
	s_load_b64 s[6:7], s[6:7], 0x0
	s_load_b64 s[0:1], s[0:1], 0x0
	s_and_b32 vcc_lo, exec_lo, s15
	s_mov_b32 s4, -1
	s_cbranch_vccz .LBB4_3
; %bb.2:
	s_lshl_b32 s4, s5, 1
	s_delay_alu instid0(SALU_CYCLE_1) | instskip(NEXT) | instid1(VALU_DEP_1)
	v_sub_nc_u32_e32 v3, s4, v2
	v_mad_u64_u32 v[0:1], null, v2, v3, v[2:3]
	s_delay_alu instid0(VALU_DEP_1) | instskip(NEXT) | instid1(VALU_DEP_1)
	v_lshrrev_b32_e32 v1, 31, v0
	v_add_nc_u32_e32 v0, v0, v1
	v_sub_nc_u32_e32 v1, v5, v2
	s_delay_alu instid0(VALU_DEP_2) | instskip(NEXT) | instid1(VALU_DEP_1)
	v_ashrrev_i32_e32 v0, 1, v0
	v_add_nc_u32_e32 v0, v1, v0
	s_cbranch_execz .LBB4_4
	s_branch .LBB4_5
.LBB4_3:
                                        ; implicit-def: $vgpr0
	s_and_not1_b32 vcc_lo, exec_lo, s4
	s_cbranch_vccnz .LBB4_5
.LBB4_4:
	v_mad_u64_u32 v[0:1], null, v2, v2, v[2:3]
	s_delay_alu instid0(VALU_DEP_1) | instskip(NEXT) | instid1(VALU_DEP_1)
	v_lshrrev_b32_e32 v1, 31, v0
	v_add_nc_u32_e32 v0, v0, v1
	s_delay_alu instid0(VALU_DEP_1) | instskip(NEXT) | instid1(VALU_DEP_1)
	v_ashrrev_i32_e32 v0, 1, v0
	v_add_nc_u32_e32 v0, v0, v5
.LBB4_5:
	v_ashrrev_i32_e32 v1, 31, v2
	v_mul_lo_u32 v6, v2, s11
	v_mad_u64_u32 v[3:4], null, v2, s10, 0
	s_lshl_b64 s[8:9], s[8:9], 3
	s_delay_alu instid0(VALU_DEP_3) | instskip(SKIP_4) | instid1(SALU_CYCLE_1)
	v_mul_lo_u32 v1, v1, s10
	s_waitcnt lgkmcnt(0)
	s_add_u32 s4, s6, s8
	s_addc_u32 s6, s7, s9
	s_lshl_b64 s[2:3], s[2:3], 3
	s_add_u32 s2, s0, s2
	v_cmp_gt_i32_e64 s0, s5, v2
	s_addc_u32 s3, s1, s3
	v_add3_u32 v4, v4, v6, v1
	s_and_b32 vcc_lo, exec_lo, s15
	s_delay_alu instid0(VALU_DEP_1)
	v_lshlrev_b64 v[3:4], 3, v[3:4]
	s_cbranch_vccz .LBB4_7
; %bb.6:
	v_cmp_le_i32_e32 vcc_lo, s5, v5
	v_cmp_le_i32_e64 s1, v5, v2
	s_mov_b32 s7, -1
	s_delay_alu instid0(VALU_DEP_1) | instskip(NEXT) | instid1(SALU_CYCLE_1)
	s_or_b32 s1, s1, vcc_lo
	s_and_b32 s1, s1, exec_lo
	s_cbranch_execz .LBB4_8
	s_branch .LBB4_9
.LBB4_7:
	s_mov_b32 s1, 0
	s_mov_b32 s7, 0
.LBB4_8:
	v_cmp_lt_i32_e32 vcc_lo, v5, v2
	s_and_not1_b32 s7, s7, exec_lo
	s_and_not1_b32 s1, s1, exec_lo
	s_and_b32 s8, vcc_lo, s0
	s_delay_alu instid0(SALU_CYCLE_1)
	s_xor_b32 s9, s8, -1
	s_and_b32 s8, s8, exec_lo
	s_and_b32 s9, s9, exec_lo
	s_or_b32 s7, s7, s8
	s_or_b32 s1, s1, s9
.LBB4_9:
	v_add_co_u32 v3, vcc_lo, s4, v3
	v_add_co_ci_u32_e32 v4, vcc_lo, s6, v4, vcc_lo
	s_and_saveexec_b32 s8, s1
	s_delay_alu instid0(SALU_CYCLE_1)
	s_xor_b32 s8, exec_lo, s8
	s_cbranch_execz .LBB4_13
; %bb.10:
	v_cmp_eq_u32_e32 vcc_lo, v5, v2
	v_cmp_gt_i32_e64 s1, s5, v5
	s_delay_alu instid0(VALU_DEP_1) | instskip(NEXT) | instid1(SALU_CYCLE_1)
	s_and_b32 s9, vcc_lo, s1
	s_and_saveexec_b32 s1, s9
	s_cbranch_execz .LBB4_12
; %bb.11:
	v_ashrrev_i32_e32 v1, 31, v5
	v_mul_lo_u32 v8, v5, s11
	v_mad_u64_u32 v[6:7], null, v5, s10, 0
	v_mov_b32_e32 v11, 0
	s_delay_alu instid0(VALU_DEP_4) | instskip(NEXT) | instid1(VALU_DEP_1)
	v_mul_lo_u32 v1, v1, s10
	v_add3_u32 v7, v7, v8, v1
	v_ashrrev_i32_e32 v1, 31, v0
	s_delay_alu instid0(VALU_DEP_2) | instskip(NEXT) | instid1(VALU_DEP_2)
	v_lshlrev_b64 v[6:7], 3, v[6:7]
	v_lshlrev_b64 v[8:9], 3, v[0:1]
	s_delay_alu instid0(VALU_DEP_2) | instskip(NEXT) | instid1(VALU_DEP_3)
	v_add_co_u32 v6, vcc_lo, s4, v6
	v_add_co_ci_u32_e32 v7, vcc_lo, s6, v7, vcc_lo
	s_delay_alu instid0(VALU_DEP_3) | instskip(NEXT) | instid1(VALU_DEP_4)
	v_add_co_u32 v8, vcc_lo, s2, v8
	v_add_co_ci_u32_e32 v9, vcc_lo, s3, v9, vcc_lo
	global_load_b64 v[6:7], v[6:7], off
	global_load_b32 v10, v[8:9], off
	s_waitcnt vmcnt(1)
	v_mul_f32_e32 v1, v7, v7
	s_delay_alu instid0(VALU_DEP_1) | instskip(SKIP_1) | instid1(VALU_DEP_1)
	v_fmac_f32_e32 v1, v6, v6
	s_waitcnt vmcnt(0)
	v_fmac_f32_e32 v10, s12, v1
	global_store_b64 v[8:9], v[10:11], off
.LBB4_12:
	s_or_b32 exec_lo, exec_lo, s1
	s_delay_alu instid0(SALU_CYCLE_1)
	s_and_not1_b32 s7, s7, exec_lo
.LBB4_13:
	s_or_b32 exec_lo, exec_lo, s8
	v_ashrrev_i32_e32 v1, 31, v0
	s_and_saveexec_b32 s1, s7
	s_cbranch_execz .LBB4_15
; %bb.14:
	v_ashrrev_i32_e32 v8, 31, v5
	v_mul_lo_u32 v9, v5, s11
	v_mad_u64_u32 v[6:7], null, v5, s10, 0
	global_load_b64 v[10:11], v[3:4], off
	v_mul_lo_u32 v8, v8, s10
	s_delay_alu instid0(VALU_DEP_1) | instskip(SKIP_1) | instid1(VALU_DEP_2)
	v_add3_u32 v7, v7, v9, v8
	v_lshlrev_b64 v[8:9], 3, v[0:1]
	v_lshlrev_b64 v[6:7], 3, v[6:7]
	s_delay_alu instid0(VALU_DEP_1) | instskip(NEXT) | instid1(VALU_DEP_2)
	v_add_co_u32 v6, vcc_lo, s4, v6
	v_add_co_ci_u32_e32 v7, vcc_lo, s6, v7, vcc_lo
	s_delay_alu instid0(VALU_DEP_4)
	v_add_co_u32 v8, vcc_lo, s2, v8
	v_add_co_ci_u32_e32 v9, vcc_lo, s3, v9, vcc_lo
	global_load_b64 v[6:7], v[6:7], off
	global_load_b64 v[12:13], v[8:9], off
	s_waitcnt vmcnt(1)
	v_dual_mul_f32 v7, s12, v7 :: v_dual_mul_f32 v6, s12, v6
	s_delay_alu instid0(VALU_DEP_1) | instskip(NEXT) | instid1(VALU_DEP_1)
	v_mul_f32_e32 v14, v7, v11
	v_fmac_f32_e32 v14, v6, v10
	s_waitcnt vmcnt(0)
	s_delay_alu instid0(VALU_DEP_1) | instskip(NEXT) | instid1(VALU_DEP_1)
	v_dual_mul_f32 v11, v6, v11 :: v_dual_add_f32 v6, v12, v14
	v_fma_f32 v7, v7, v10, -v11
	s_delay_alu instid0(VALU_DEP_1)
	v_add_f32_e32 v7, v13, v7
	global_store_b64 v[8:9], v[6:7], off
.LBB4_15:
	s_or_b32 exec_lo, exec_lo, s1
	v_add_nc_u32_e32 v5, 64, v5
	s_and_not1_b32 vcc_lo, exec_lo, s15
	s_delay_alu instid0(VALU_DEP_1)
	v_cmp_gt_i32_e64 s1, s5, v5
	s_cbranch_vccnz .LBB4_17
; %bb.16:
	v_cmp_lt_i32_e32 vcc_lo, v2, v5
	s_delay_alu instid0(VALU_DEP_2) | instskip(NEXT) | instid1(SALU_CYCLE_1)
	s_and_b32 s1, s1, vcc_lo
	s_xor_b32 s8, s1, -1
	s_and_b32 s1, s1, exec_lo
	s_and_b32 s8, s8, exec_lo
	s_cbranch_execz .LBB4_18
	s_branch .LBB4_19
.LBB4_17:
	s_mov_b32 s8, 0
	s_mov_b32 s1, 0
.LBB4_18:
	v_cmp_ge_i32_e32 vcc_lo, v5, v2
	s_xor_b32 s0, s0, -1
	s_and_not1_b32 s7, s8, exec_lo
	s_or_b32 s1, s1, exec_lo
	s_or_b32 s0, s0, vcc_lo
	s_delay_alu instid0(SALU_CYCLE_1) | instskip(NEXT) | instid1(SALU_CYCLE_1)
	s_and_b32 s0, s0, exec_lo
	s_or_b32 s8, s7, s0
.LBB4_19:
	s_delay_alu instid0(SALU_CYCLE_1)
	s_and_saveexec_b32 s7, s8
	s_cbranch_execnz .LBB4_23
; %bb.20:
	s_or_b32 exec_lo, exec_lo, s7
	s_and_saveexec_b32 s0, s1
	s_cbranch_execz .LBB4_22
.LBB4_21:
	v_ashrrev_i32_e32 v2, 31, v5
	v_mul_lo_u32 v8, v5, s11
	v_mad_u64_u32 v[6:7], null, v5, s10, 0
	v_lshlrev_b64 v[0:1], 3, v[0:1]
	s_delay_alu instid0(VALU_DEP_4) | instskip(NEXT) | instid1(VALU_DEP_1)
	v_mul_lo_u32 v2, v2, s10
	v_add3_u32 v7, v7, v8, v2
	global_load_b64 v[2:3], v[3:4], off
	v_lshlrev_b64 v[5:6], 3, v[6:7]
	s_delay_alu instid0(VALU_DEP_1) | instskip(NEXT) | instid1(VALU_DEP_2)
	v_add_co_u32 v5, vcc_lo, s4, v5
	v_add_co_ci_u32_e32 v6, vcc_lo, s6, v6, vcc_lo
	v_add_co_u32 v0, vcc_lo, s2, v0
	v_add_co_ci_u32_e32 v1, vcc_lo, s3, v1, vcc_lo
	global_load_b64 v[5:6], v[5:6], off
	global_load_b64 v[7:8], v[0:1], off offset:512
	s_waitcnt vmcnt(1)
	v_dual_mul_f32 v4, s12, v6 :: v_dual_mul_f32 v5, s12, v5
	s_delay_alu instid0(VALU_DEP_1) | instskip(NEXT) | instid1(VALU_DEP_1)
	v_mul_f32_e32 v6, v4, v3
	v_fmac_f32_e32 v6, v5, v2
	v_mul_f32_e32 v3, v5, v3
	s_delay_alu instid0(VALU_DEP_1) | instskip(SKIP_1) | instid1(VALU_DEP_1)
	v_fma_f32 v3, v4, v2, -v3
	s_waitcnt vmcnt(0)
	v_dual_add_f32 v3, v8, v3 :: v_dual_add_f32 v2, v7, v6
	global_store_b64 v[0:1], v[2:3], off offset:512
.LBB4_22:
	s_nop 0
	s_sendmsg sendmsg(MSG_DEALLOC_VGPRS)
	s_endpgm
.LBB4_23:
	v_cmp_eq_u32_e32 vcc_lo, v5, v2
	v_cmp_gt_i32_e64 s0, s5, v5
	s_delay_alu instid0(VALU_DEP_1) | instskip(NEXT) | instid1(SALU_CYCLE_1)
	s_and_b32 s5, vcc_lo, s0
	s_and_saveexec_b32 s0, s5
	s_cbranch_execz .LBB4_25
; %bb.24:
	v_lshlrev_b64 v[6:7], 3, v[0:1]
	global_load_b64 v[8:9], v[3:4], off
	v_mov_b32_e32 v11, 0
	v_add_co_u32 v6, vcc_lo, s2, v6
	v_add_co_ci_u32_e32 v7, vcc_lo, s3, v7, vcc_lo
	global_load_b32 v10, v[6:7], off offset:512
	s_waitcnt vmcnt(1)
	v_mul_f32_e32 v2, v9, v9
	s_delay_alu instid0(VALU_DEP_1) | instskip(SKIP_1) | instid1(VALU_DEP_1)
	v_fmac_f32_e32 v2, v8, v8
	s_waitcnt vmcnt(0)
	v_fmac_f32_e32 v10, s12, v2
	global_store_b64 v[6:7], v[10:11], off offset:512
.LBB4_25:
	s_or_b32 exec_lo, exec_lo, s0
	s_delay_alu instid0(SALU_CYCLE_1)
	s_and_not1_b32 s1, s1, exec_lo
	s_or_b32 exec_lo, exec_lo, s7
	s_and_saveexec_b32 s0, s1
	s_cbranch_execnz .LBB4_21
	s_branch .LBB4_22
	.section	.rodata,"a",@progbits
	.p2align	6, 0x0
	.amdhsa_kernel _ZL18rocblas_hpr_kernelILi64ELi16ELi2EPKfPKPK19rocblas_complex_numIfEPKPS3_EvbiT2_T3_lllT4_lli
		.amdhsa_group_segment_fixed_size 0
		.amdhsa_private_segment_fixed_size 0
		.amdhsa_kernarg_size 76
		.amdhsa_user_sgpr_count 13
		.amdhsa_user_sgpr_dispatch_ptr 0
		.amdhsa_user_sgpr_queue_ptr 0
		.amdhsa_user_sgpr_kernarg_segment_ptr 1
		.amdhsa_user_sgpr_dispatch_id 0
		.amdhsa_user_sgpr_private_segment_size 0
		.amdhsa_wavefront_size32 1
		.amdhsa_uses_dynamic_stack 0
		.amdhsa_enable_private_segment 0
		.amdhsa_system_sgpr_workgroup_id_x 1
		.amdhsa_system_sgpr_workgroup_id_y 1
		.amdhsa_system_sgpr_workgroup_id_z 1
		.amdhsa_system_sgpr_workgroup_info 0
		.amdhsa_system_vgpr_workitem_id 1
		.amdhsa_next_free_vgpr 15
		.amdhsa_next_free_sgpr 18
		.amdhsa_reserve_vcc 1
		.amdhsa_float_round_mode_32 0
		.amdhsa_float_round_mode_16_64 0
		.amdhsa_float_denorm_mode_32 3
		.amdhsa_float_denorm_mode_16_64 3
		.amdhsa_dx10_clamp 1
		.amdhsa_ieee_mode 1
		.amdhsa_fp16_overflow 0
		.amdhsa_workgroup_processor_mode 1
		.amdhsa_memory_ordered 1
		.amdhsa_forward_progress 0
		.amdhsa_shared_vgpr_count 0
		.amdhsa_exception_fp_ieee_invalid_op 0
		.amdhsa_exception_fp_denorm_src 0
		.amdhsa_exception_fp_ieee_div_zero 0
		.amdhsa_exception_fp_ieee_overflow 0
		.amdhsa_exception_fp_ieee_underflow 0
		.amdhsa_exception_fp_ieee_inexact 0
		.amdhsa_exception_int_div_zero 0
	.end_amdhsa_kernel
	.section	.text._ZL18rocblas_hpr_kernelILi64ELi16ELi2EPKfPKPK19rocblas_complex_numIfEPKPS3_EvbiT2_T3_lllT4_lli,"axG",@progbits,_ZL18rocblas_hpr_kernelILi64ELi16ELi2EPKfPKPK19rocblas_complex_numIfEPKPS3_EvbiT2_T3_lllT4_lli,comdat
.Lfunc_end4:
	.size	_ZL18rocblas_hpr_kernelILi64ELi16ELi2EPKfPKPK19rocblas_complex_numIfEPKPS3_EvbiT2_T3_lllT4_lli, .Lfunc_end4-_ZL18rocblas_hpr_kernelILi64ELi16ELi2EPKfPKPK19rocblas_complex_numIfEPKPS3_EvbiT2_T3_lllT4_lli
                                        ; -- End function
	.section	.AMDGPU.csdata,"",@progbits
; Kernel info:
; codeLenInByte = 1288
; NumSgprs: 20
; NumVgprs: 15
; ScratchSize: 0
; MemoryBound: 0
; FloatMode: 240
; IeeeMode: 1
; LDSByteSize: 0 bytes/workgroup (compile time only)
; SGPRBlocks: 2
; VGPRBlocks: 1
; NumSGPRsForWavesPerEU: 20
; NumVGPRsForWavesPerEU: 15
; Occupancy: 16
; WaveLimiterHint : 1
; COMPUTE_PGM_RSRC2:SCRATCH_EN: 0
; COMPUTE_PGM_RSRC2:USER_SGPR: 13
; COMPUTE_PGM_RSRC2:TRAP_HANDLER: 0
; COMPUTE_PGM_RSRC2:TGID_X_EN: 1
; COMPUTE_PGM_RSRC2:TGID_Y_EN: 1
; COMPUTE_PGM_RSRC2:TGID_Z_EN: 1
; COMPUTE_PGM_RSRC2:TIDIG_COMP_CNT: 1
	.section	.text._ZL18rocblas_hpr_kernelILi64ELi16ELi2EfPKPK19rocblas_complex_numIfEPKPS1_EvbiT2_T3_lllT4_lli,"axG",@progbits,_ZL18rocblas_hpr_kernelILi64ELi16ELi2EfPKPK19rocblas_complex_numIfEPKPS1_EvbiT2_T3_lllT4_lli,comdat
	.globl	_ZL18rocblas_hpr_kernelILi64ELi16ELi2EfPKPK19rocblas_complex_numIfEPKPS1_EvbiT2_T3_lllT4_lli ; -- Begin function _ZL18rocblas_hpr_kernelILi64ELi16ELi2EfPKPK19rocblas_complex_numIfEPKPS1_EvbiT2_T3_lllT4_lli
	.p2align	8
	.type	_ZL18rocblas_hpr_kernelILi64ELi16ELi2EfPKPK19rocblas_complex_numIfEPKPS1_EvbiT2_T3_lllT4_lli,@function
_ZL18rocblas_hpr_kernelILi64ELi16ELi2EfPKPK19rocblas_complex_numIfEPKPS1_EvbiT2_T3_lllT4_lli: ; @_ZL18rocblas_hpr_kernelILi64ELi16ELi2EfPKPK19rocblas_complex_numIfEPKPS1_EvbiT2_T3_lllT4_lli
; %bb.0:
	s_load_b128 s[4:7], s[0:1], 0x0
	s_waitcnt lgkmcnt(0)
	v_cmp_eq_f32_e64 s3, s6, 0
	s_delay_alu instid0(VALU_DEP_1)
	s_and_b32 vcc_lo, exec_lo, s3
	s_mov_b32 s3, 0
	s_cbranch_vccnz .LBB5_22
; %bb.1:
	s_clause 0x1
	s_load_b128 s[16:19], s[0:1], 0x10
	s_load_b128 s[8:11], s[0:1], 0x30
	s_bitcmp1_b32 s4, 0
	s_mov_b32 s2, s15
	s_cselect_b32 s4, -1, 0
	s_lshl_b64 s[20:21], s[2:3], 3
	s_xor_b32 s12, s4, -1
	s_load_b64 s[2:3], s[0:1], 0x20
	v_and_b32_e32 v1, 0x3ff, v0
	v_bfe_u32 v0, v0, 10, 10
	s_mov_b32 s4, -1
	s_delay_alu instid0(VALU_DEP_2) | instskip(NEXT) | instid1(VALU_DEP_2)
	v_lshl_add_u32 v5, s13, 7, v1
	v_lshl_add_u32 v2, s14, 4, v0
	s_waitcnt lgkmcnt(0)
	s_add_u32 s0, s16, s20
	s_addc_u32 s1, s17, s21
	s_add_u32 s16, s8, s20
	s_addc_u32 s17, s9, s21
	s_load_b64 s[8:9], s[0:1], 0x0
	s_load_b64 s[0:1], s[16:17], 0x0
	s_and_b32 vcc_lo, exec_lo, s12
	s_cbranch_vccz .LBB5_3
; %bb.2:
	s_lshl_b32 s4, s5, 1
	s_delay_alu instid0(SALU_CYCLE_1) | instskip(NEXT) | instid1(VALU_DEP_1)
	v_sub_nc_u32_e32 v3, s4, v2
	v_mad_u64_u32 v[0:1], null, v2, v3, v[2:3]
	s_delay_alu instid0(VALU_DEP_1) | instskip(NEXT) | instid1(VALU_DEP_1)
	v_lshrrev_b32_e32 v1, 31, v0
	v_add_nc_u32_e32 v0, v0, v1
	v_sub_nc_u32_e32 v1, v5, v2
	s_delay_alu instid0(VALU_DEP_2) | instskip(NEXT) | instid1(VALU_DEP_1)
	v_ashrrev_i32_e32 v0, 1, v0
	v_add_nc_u32_e32 v0, v1, v0
	s_cbranch_execz .LBB5_4
	s_branch .LBB5_5
.LBB5_3:
                                        ; implicit-def: $vgpr0
	s_and_not1_b32 vcc_lo, exec_lo, s4
	s_cbranch_vccnz .LBB5_5
.LBB5_4:
	v_mad_u64_u32 v[0:1], null, v2, v2, v[2:3]
	s_delay_alu instid0(VALU_DEP_1) | instskip(NEXT) | instid1(VALU_DEP_1)
	v_lshrrev_b32_e32 v1, 31, v0
	v_add_nc_u32_e32 v0, v0, v1
	s_delay_alu instid0(VALU_DEP_1) | instskip(NEXT) | instid1(VALU_DEP_1)
	v_ashrrev_i32_e32 v0, 1, v0
	v_add_nc_u32_e32 v0, v0, v5
.LBB5_5:
	v_ashrrev_i32_e32 v1, 31, v2
	v_mul_lo_u32 v6, v2, s3
	v_mad_u64_u32 v[3:4], null, v2, s2, 0
	s_lshl_b64 s[14:15], s[18:19], 3
	s_delay_alu instid0(VALU_DEP_3) | instskip(SKIP_4) | instid1(SALU_CYCLE_1)
	v_mul_lo_u32 v1, v1, s2
	s_waitcnt lgkmcnt(0)
	s_add_u32 s8, s8, s14
	s_addc_u32 s9, s9, s15
	s_lshl_b64 s[10:11], s[10:11], 3
	s_add_u32 s4, s0, s10
	v_cmp_gt_i32_e64 s0, s5, v2
	s_addc_u32 s7, s1, s11
	v_add3_u32 v4, v4, v6, v1
	s_and_b32 vcc_lo, exec_lo, s12
	s_delay_alu instid0(VALU_DEP_1)
	v_lshlrev_b64 v[3:4], 3, v[3:4]
	s_cbranch_vccz .LBB5_7
; %bb.6:
	v_cmp_le_i32_e32 vcc_lo, s5, v5
	v_cmp_le_i32_e64 s1, v5, v2
	s_mov_b32 s10, -1
	s_delay_alu instid0(VALU_DEP_1) | instskip(NEXT) | instid1(SALU_CYCLE_1)
	s_or_b32 s1, s1, vcc_lo
	s_and_b32 s1, s1, exec_lo
	s_cbranch_execz .LBB5_8
	s_branch .LBB5_9
.LBB5_7:
	s_mov_b32 s1, 0
	s_mov_b32 s10, 0
.LBB5_8:
	v_cmp_lt_i32_e32 vcc_lo, v5, v2
	s_and_not1_b32 s10, s10, exec_lo
	s_and_not1_b32 s1, s1, exec_lo
	s_and_b32 s11, vcc_lo, s0
	s_delay_alu instid0(SALU_CYCLE_1)
	s_xor_b32 s13, s11, -1
	s_and_b32 s11, s11, exec_lo
	s_and_b32 s13, s13, exec_lo
	s_or_b32 s10, s10, s11
	s_or_b32 s1, s1, s13
.LBB5_9:
	v_add_co_u32 v3, vcc_lo, s8, v3
	v_add_co_ci_u32_e32 v4, vcc_lo, s9, v4, vcc_lo
	s_and_saveexec_b32 s11, s1
	s_delay_alu instid0(SALU_CYCLE_1)
	s_xor_b32 s11, exec_lo, s11
	s_cbranch_execz .LBB5_13
; %bb.10:
	v_cmp_eq_u32_e32 vcc_lo, v5, v2
	v_cmp_gt_i32_e64 s1, s5, v5
	s_delay_alu instid0(VALU_DEP_1) | instskip(NEXT) | instid1(SALU_CYCLE_1)
	s_and_b32 s13, vcc_lo, s1
	s_and_saveexec_b32 s1, s13
	s_cbranch_execz .LBB5_12
; %bb.11:
	v_ashrrev_i32_e32 v1, 31, v5
	v_mul_lo_u32 v8, v5, s3
	v_mad_u64_u32 v[6:7], null, v5, s2, 0
	v_mov_b32_e32 v11, 0
	s_delay_alu instid0(VALU_DEP_4) | instskip(NEXT) | instid1(VALU_DEP_1)
	v_mul_lo_u32 v1, v1, s2
	v_add3_u32 v7, v7, v8, v1
	v_ashrrev_i32_e32 v1, 31, v0
	s_delay_alu instid0(VALU_DEP_2) | instskip(NEXT) | instid1(VALU_DEP_2)
	v_lshlrev_b64 v[6:7], 3, v[6:7]
	v_lshlrev_b64 v[8:9], 3, v[0:1]
	s_delay_alu instid0(VALU_DEP_2) | instskip(NEXT) | instid1(VALU_DEP_3)
	v_add_co_u32 v6, vcc_lo, s8, v6
	v_add_co_ci_u32_e32 v7, vcc_lo, s9, v7, vcc_lo
	s_delay_alu instid0(VALU_DEP_3) | instskip(NEXT) | instid1(VALU_DEP_4)
	v_add_co_u32 v8, vcc_lo, s4, v8
	v_add_co_ci_u32_e32 v9, vcc_lo, s7, v9, vcc_lo
	global_load_b64 v[6:7], v[6:7], off
	global_load_b32 v10, v[8:9], off
	s_waitcnt vmcnt(1)
	v_mul_f32_e32 v1, v7, v7
	s_delay_alu instid0(VALU_DEP_1) | instskip(SKIP_1) | instid1(VALU_DEP_1)
	v_fmac_f32_e32 v1, v6, v6
	s_waitcnt vmcnt(0)
	v_fmac_f32_e32 v10, s6, v1
	global_store_b64 v[8:9], v[10:11], off
.LBB5_12:
	s_or_b32 exec_lo, exec_lo, s1
	s_delay_alu instid0(SALU_CYCLE_1)
	s_and_not1_b32 s10, s10, exec_lo
.LBB5_13:
	s_or_b32 exec_lo, exec_lo, s11
	v_ashrrev_i32_e32 v1, 31, v0
	s_and_saveexec_b32 s1, s10
	s_cbranch_execz .LBB5_15
; %bb.14:
	v_ashrrev_i32_e32 v8, 31, v5
	v_mul_lo_u32 v9, v5, s3
	v_mad_u64_u32 v[6:7], null, v5, s2, 0
	global_load_b64 v[10:11], v[3:4], off
	v_mul_lo_u32 v8, v8, s2
	s_delay_alu instid0(VALU_DEP_1) | instskip(SKIP_1) | instid1(VALU_DEP_2)
	v_add3_u32 v7, v7, v9, v8
	v_lshlrev_b64 v[8:9], 3, v[0:1]
	v_lshlrev_b64 v[6:7], 3, v[6:7]
	s_delay_alu instid0(VALU_DEP_1) | instskip(NEXT) | instid1(VALU_DEP_2)
	v_add_co_u32 v6, vcc_lo, s8, v6
	v_add_co_ci_u32_e32 v7, vcc_lo, s9, v7, vcc_lo
	s_delay_alu instid0(VALU_DEP_4)
	v_add_co_u32 v8, vcc_lo, s4, v8
	v_add_co_ci_u32_e32 v9, vcc_lo, s7, v9, vcc_lo
	global_load_b64 v[6:7], v[6:7], off
	global_load_b64 v[12:13], v[8:9], off
	s_waitcnt vmcnt(1)
	v_dual_mul_f32 v7, s6, v7 :: v_dual_mul_f32 v6, s6, v6
	s_delay_alu instid0(VALU_DEP_1) | instskip(NEXT) | instid1(VALU_DEP_1)
	v_mul_f32_e32 v14, v7, v11
	v_fmac_f32_e32 v14, v6, v10
	s_waitcnt vmcnt(0)
	s_delay_alu instid0(VALU_DEP_1) | instskip(NEXT) | instid1(VALU_DEP_1)
	v_dual_mul_f32 v11, v6, v11 :: v_dual_add_f32 v6, v12, v14
	v_fma_f32 v7, v7, v10, -v11
	s_delay_alu instid0(VALU_DEP_1)
	v_add_f32_e32 v7, v13, v7
	global_store_b64 v[8:9], v[6:7], off
.LBB5_15:
	s_or_b32 exec_lo, exec_lo, s1
	v_add_nc_u32_e32 v5, 64, v5
	s_and_not1_b32 vcc_lo, exec_lo, s12
	s_delay_alu instid0(VALU_DEP_1)
	v_cmp_gt_i32_e64 s1, s5, v5
	s_cbranch_vccnz .LBB5_17
; %bb.16:
	v_cmp_lt_i32_e32 vcc_lo, v2, v5
	s_delay_alu instid0(VALU_DEP_2) | instskip(NEXT) | instid1(SALU_CYCLE_1)
	s_and_b32 s1, s1, vcc_lo
	s_xor_b32 s11, s1, -1
	s_and_b32 s1, s1, exec_lo
	s_and_b32 s11, s11, exec_lo
	s_cbranch_execz .LBB5_18
	s_branch .LBB5_19
.LBB5_17:
	s_mov_b32 s11, 0
	s_mov_b32 s1, 0
.LBB5_18:
	v_cmp_ge_i32_e32 vcc_lo, v5, v2
	s_xor_b32 s0, s0, -1
	s_and_not1_b32 s10, s11, exec_lo
	s_or_b32 s1, s1, exec_lo
	s_or_b32 s0, s0, vcc_lo
	s_delay_alu instid0(SALU_CYCLE_1) | instskip(NEXT) | instid1(SALU_CYCLE_1)
	s_and_b32 s0, s0, exec_lo
	s_or_b32 s11, s10, s0
.LBB5_19:
	s_delay_alu instid0(SALU_CYCLE_1)
	s_and_saveexec_b32 s10, s11
	s_cbranch_execnz .LBB5_23
; %bb.20:
	s_or_b32 exec_lo, exec_lo, s10
	s_and_saveexec_b32 s0, s1
	s_cbranch_execz .LBB5_22
.LBB5_21:
	v_ashrrev_i32_e32 v2, 31, v5
	v_mul_lo_u32 v8, v5, s3
	v_mad_u64_u32 v[6:7], null, v5, s2, 0
	v_lshlrev_b64 v[0:1], 3, v[0:1]
	s_delay_alu instid0(VALU_DEP_4) | instskip(NEXT) | instid1(VALU_DEP_1)
	v_mul_lo_u32 v2, v2, s2
	v_add3_u32 v7, v7, v8, v2
	global_load_b64 v[2:3], v[3:4], off
	v_lshlrev_b64 v[5:6], 3, v[6:7]
	s_delay_alu instid0(VALU_DEP_1) | instskip(NEXT) | instid1(VALU_DEP_2)
	v_add_co_u32 v5, vcc_lo, s8, v5
	v_add_co_ci_u32_e32 v6, vcc_lo, s9, v6, vcc_lo
	v_add_co_u32 v0, vcc_lo, s4, v0
	v_add_co_ci_u32_e32 v1, vcc_lo, s7, v1, vcc_lo
	global_load_b64 v[5:6], v[5:6], off
	global_load_b64 v[7:8], v[0:1], off offset:512
	s_waitcnt vmcnt(1)
	v_dual_mul_f32 v4, s6, v6 :: v_dual_mul_f32 v5, s6, v5
	s_delay_alu instid0(VALU_DEP_1) | instskip(NEXT) | instid1(VALU_DEP_1)
	v_mul_f32_e32 v6, v4, v3
	v_fmac_f32_e32 v6, v5, v2
	v_mul_f32_e32 v3, v5, v3
	s_delay_alu instid0(VALU_DEP_1) | instskip(SKIP_1) | instid1(VALU_DEP_1)
	v_fma_f32 v3, v4, v2, -v3
	s_waitcnt vmcnt(0)
	v_dual_add_f32 v3, v8, v3 :: v_dual_add_f32 v2, v7, v6
	global_store_b64 v[0:1], v[2:3], off offset:512
.LBB5_22:
	s_nop 0
	s_sendmsg sendmsg(MSG_DEALLOC_VGPRS)
	s_endpgm
.LBB5_23:
	v_cmp_eq_u32_e32 vcc_lo, v5, v2
	v_cmp_gt_i32_e64 s0, s5, v5
	s_delay_alu instid0(VALU_DEP_1) | instskip(NEXT) | instid1(SALU_CYCLE_1)
	s_and_b32 s5, vcc_lo, s0
	s_and_saveexec_b32 s0, s5
	s_cbranch_execz .LBB5_25
; %bb.24:
	v_lshlrev_b64 v[6:7], 3, v[0:1]
	global_load_b64 v[8:9], v[3:4], off
	v_mov_b32_e32 v11, 0
	v_add_co_u32 v6, vcc_lo, s4, v6
	v_add_co_ci_u32_e32 v7, vcc_lo, s7, v7, vcc_lo
	global_load_b32 v10, v[6:7], off offset:512
	s_waitcnt vmcnt(1)
	v_mul_f32_e32 v2, v9, v9
	s_delay_alu instid0(VALU_DEP_1) | instskip(SKIP_1) | instid1(VALU_DEP_1)
	v_fmac_f32_e32 v2, v8, v8
	s_waitcnt vmcnt(0)
	v_fmac_f32_e32 v10, s6, v2
	global_store_b64 v[6:7], v[10:11], off offset:512
.LBB5_25:
	s_or_b32 exec_lo, exec_lo, s0
	s_delay_alu instid0(SALU_CYCLE_1)
	s_and_not1_b32 s1, s1, exec_lo
	s_or_b32 exec_lo, exec_lo, s10
	s_and_saveexec_b32 s0, s1
	s_cbranch_execnz .LBB5_21
	s_branch .LBB5_22
	.section	.rodata,"a",@progbits
	.p2align	6, 0x0
	.amdhsa_kernel _ZL18rocblas_hpr_kernelILi64ELi16ELi2EfPKPK19rocblas_complex_numIfEPKPS1_EvbiT2_T3_lllT4_lli
		.amdhsa_group_segment_fixed_size 0
		.amdhsa_private_segment_fixed_size 0
		.amdhsa_kernarg_size 76
		.amdhsa_user_sgpr_count 13
		.amdhsa_user_sgpr_dispatch_ptr 0
		.amdhsa_user_sgpr_queue_ptr 0
		.amdhsa_user_sgpr_kernarg_segment_ptr 1
		.amdhsa_user_sgpr_dispatch_id 0
		.amdhsa_user_sgpr_private_segment_size 0
		.amdhsa_wavefront_size32 1
		.amdhsa_uses_dynamic_stack 0
		.amdhsa_enable_private_segment 0
		.amdhsa_system_sgpr_workgroup_id_x 1
		.amdhsa_system_sgpr_workgroup_id_y 1
		.amdhsa_system_sgpr_workgroup_id_z 1
		.amdhsa_system_sgpr_workgroup_info 0
		.amdhsa_system_vgpr_workitem_id 1
		.amdhsa_next_free_vgpr 15
		.amdhsa_next_free_sgpr 22
		.amdhsa_reserve_vcc 1
		.amdhsa_float_round_mode_32 0
		.amdhsa_float_round_mode_16_64 0
		.amdhsa_float_denorm_mode_32 3
		.amdhsa_float_denorm_mode_16_64 3
		.amdhsa_dx10_clamp 1
		.amdhsa_ieee_mode 1
		.amdhsa_fp16_overflow 0
		.amdhsa_workgroup_processor_mode 1
		.amdhsa_memory_ordered 1
		.amdhsa_forward_progress 0
		.amdhsa_shared_vgpr_count 0
		.amdhsa_exception_fp_ieee_invalid_op 0
		.amdhsa_exception_fp_denorm_src 0
		.amdhsa_exception_fp_ieee_div_zero 0
		.amdhsa_exception_fp_ieee_overflow 0
		.amdhsa_exception_fp_ieee_underflow 0
		.amdhsa_exception_fp_ieee_inexact 0
		.amdhsa_exception_int_div_zero 0
	.end_amdhsa_kernel
	.section	.text._ZL18rocblas_hpr_kernelILi64ELi16ELi2EfPKPK19rocblas_complex_numIfEPKPS1_EvbiT2_T3_lllT4_lli,"axG",@progbits,_ZL18rocblas_hpr_kernelILi64ELi16ELi2EfPKPK19rocblas_complex_numIfEPKPS1_EvbiT2_T3_lllT4_lli,comdat
.Lfunc_end5:
	.size	_ZL18rocblas_hpr_kernelILi64ELi16ELi2EfPKPK19rocblas_complex_numIfEPKPS1_EvbiT2_T3_lllT4_lli, .Lfunc_end5-_ZL18rocblas_hpr_kernelILi64ELi16ELi2EfPKPK19rocblas_complex_numIfEPKPS1_EvbiT2_T3_lllT4_lli
                                        ; -- End function
	.section	.AMDGPU.csdata,"",@progbits
; Kernel info:
; codeLenInByte = 1284
; NumSgprs: 24
; NumVgprs: 15
; ScratchSize: 0
; MemoryBound: 0
; FloatMode: 240
; IeeeMode: 1
; LDSByteSize: 0 bytes/workgroup (compile time only)
; SGPRBlocks: 2
; VGPRBlocks: 1
; NumSGPRsForWavesPerEU: 24
; NumVGPRsForWavesPerEU: 15
; Occupancy: 16
; WaveLimiterHint : 1
; COMPUTE_PGM_RSRC2:SCRATCH_EN: 0
; COMPUTE_PGM_RSRC2:USER_SGPR: 13
; COMPUTE_PGM_RSRC2:TRAP_HANDLER: 0
; COMPUTE_PGM_RSRC2:TGID_X_EN: 1
; COMPUTE_PGM_RSRC2:TGID_Y_EN: 1
; COMPUTE_PGM_RSRC2:TGID_Z_EN: 1
; COMPUTE_PGM_RSRC2:TIDIG_COMP_CNT: 1
	.section	.text._ZL18rocblas_hpr_kernelILi64ELi16ELi2EPKdPKPK19rocblas_complex_numIdEPKPS3_EvbiT2_T3_lllT4_lli,"axG",@progbits,_ZL18rocblas_hpr_kernelILi64ELi16ELi2EPKdPKPK19rocblas_complex_numIdEPKPS3_EvbiT2_T3_lllT4_lli,comdat
	.globl	_ZL18rocblas_hpr_kernelILi64ELi16ELi2EPKdPKPK19rocblas_complex_numIdEPKPS3_EvbiT2_T3_lllT4_lli ; -- Begin function _ZL18rocblas_hpr_kernelILi64ELi16ELi2EPKdPKPK19rocblas_complex_numIdEPKPS3_EvbiT2_T3_lllT4_lli
	.p2align	8
	.type	_ZL18rocblas_hpr_kernelILi64ELi16ELi2EPKdPKPK19rocblas_complex_numIdEPKPS3_EvbiT2_T3_lllT4_lli,@function
_ZL18rocblas_hpr_kernelILi64ELi16ELi2EPKdPKPK19rocblas_complex_numIdEPKPS3_EvbiT2_T3_lllT4_lli: ; @_ZL18rocblas_hpr_kernelILi64ELi16ELi2EPKdPKPK19rocblas_complex_numIdEPKPS3_EvbiT2_T3_lllT4_lli
; %bb.0:
	s_load_b256 s[4:11], s[0:1], 0x8
	s_waitcnt lgkmcnt(0)
	s_load_b64 s[4:5], s[4:5], 0x0
	s_waitcnt lgkmcnt(0)
	v_cmp_eq_f64_e64 s2, s[4:5], 0
	s_delay_alu instid0(VALU_DEP_1)
	s_and_b32 vcc_lo, exec_lo, s2
	s_cbranch_vccnz .LBB6_22
; %bb.1:
	s_clause 0x1
	s_load_b64 s[16:17], s[0:1], 0x0
	s_load_b128 s[0:3], s[0:1], 0x30
	s_mov_b32 s18, s15
	s_mov_b32 s19, 0
	v_and_b32_e32 v1, 0x3ff, v0
	v_bfe_u32 v0, v0, 10, 10
	s_delay_alu instid0(VALU_DEP_2) | instskip(NEXT) | instid1(VALU_DEP_2)
	v_lshl_add_u32 v5, s13, 7, v1
	v_lshl_add_u32 v2, s14, 4, v0
	s_mov_b32 s13, -1
	s_waitcnt lgkmcnt(0)
	s_bitcmp1_b32 s16, 0
	s_cselect_b32 s12, -1, 0
	s_lshl_b64 s[18:19], s[18:19], 3
	s_xor_b32 s12, s12, -1
	s_add_u32 s6, s6, s18
	s_addc_u32 s7, s7, s19
	s_add_u32 s0, s0, s18
	s_addc_u32 s1, s1, s19
	s_load_b64 s[6:7], s[6:7], 0x0
	s_load_b64 s[0:1], s[0:1], 0x0
	s_and_b32 vcc_lo, exec_lo, s12
	s_cbranch_vccz .LBB6_3
; %bb.2:
	s_lshl_b32 s13, s17, 1
	s_delay_alu instid0(SALU_CYCLE_1) | instskip(NEXT) | instid1(VALU_DEP_1)
	v_sub_nc_u32_e32 v3, s13, v2
	v_mad_u64_u32 v[0:1], null, v2, v3, v[2:3]
	s_delay_alu instid0(VALU_DEP_1) | instskip(NEXT) | instid1(VALU_DEP_1)
	v_lshrrev_b32_e32 v1, 31, v0
	v_add_nc_u32_e32 v0, v0, v1
	v_sub_nc_u32_e32 v1, v5, v2
	s_delay_alu instid0(VALU_DEP_2) | instskip(NEXT) | instid1(VALU_DEP_1)
	v_ashrrev_i32_e32 v0, 1, v0
	v_add_nc_u32_e32 v0, v1, v0
	s_cbranch_execz .LBB6_4
	s_branch .LBB6_5
.LBB6_3:
                                        ; implicit-def: $vgpr0
	s_and_not1_b32 vcc_lo, exec_lo, s13
	s_cbranch_vccnz .LBB6_5
.LBB6_4:
	v_mad_u64_u32 v[0:1], null, v2, v2, v[2:3]
	s_delay_alu instid0(VALU_DEP_1) | instskip(NEXT) | instid1(VALU_DEP_1)
	v_lshrrev_b32_e32 v1, 31, v0
	v_add_nc_u32_e32 v0, v0, v1
	s_delay_alu instid0(VALU_DEP_1) | instskip(NEXT) | instid1(VALU_DEP_1)
	v_ashrrev_i32_e32 v0, 1, v0
	v_add_nc_u32_e32 v0, v0, v5
.LBB6_5:
	v_ashrrev_i32_e32 v1, 31, v2
	v_mul_lo_u32 v6, v2, s11
	v_mad_u64_u32 v[3:4], null, v2, s10, 0
	s_lshl_b64 s[8:9], s[8:9], 4
	s_delay_alu instid0(VALU_DEP_3) | instskip(SKIP_4) | instid1(SALU_CYCLE_1)
	v_mul_lo_u32 v1, v1, s10
	s_waitcnt lgkmcnt(0)
	s_add_u32 s6, s6, s8
	s_addc_u32 s7, s7, s9
	s_lshl_b64 s[2:3], s[2:3], 4
	s_add_u32 s2, s0, s2
	v_cmp_gt_i32_e64 s0, s17, v2
	s_addc_u32 s3, s1, s3
	v_add3_u32 v4, v4, v6, v1
	s_and_b32 vcc_lo, exec_lo, s12
	s_delay_alu instid0(VALU_DEP_1)
	v_lshlrev_b64 v[3:4], 4, v[3:4]
	s_cbranch_vccz .LBB6_7
; %bb.6:
	v_cmp_le_i32_e32 vcc_lo, s17, v5
	v_cmp_le_i32_e64 s1, v5, v2
	s_mov_b32 s8, -1
	s_delay_alu instid0(VALU_DEP_1) | instskip(NEXT) | instid1(SALU_CYCLE_1)
	s_or_b32 s1, s1, vcc_lo
	s_and_b32 s1, s1, exec_lo
	s_cbranch_execz .LBB6_8
	s_branch .LBB6_9
.LBB6_7:
	s_mov_b32 s1, 0
	s_mov_b32 s8, 0
.LBB6_8:
	v_cmp_lt_i32_e32 vcc_lo, v5, v2
	s_and_not1_b32 s8, s8, exec_lo
	s_and_not1_b32 s1, s1, exec_lo
	s_and_b32 s9, vcc_lo, s0
	s_delay_alu instid0(SALU_CYCLE_1)
	s_xor_b32 s13, s9, -1
	s_and_b32 s9, s9, exec_lo
	s_and_b32 s13, s13, exec_lo
	s_or_b32 s8, s8, s9
	s_or_b32 s1, s1, s13
.LBB6_9:
	v_add_co_u32 v3, vcc_lo, s6, v3
	v_add_co_ci_u32_e32 v4, vcc_lo, s7, v4, vcc_lo
	s_and_saveexec_b32 s9, s1
	s_delay_alu instid0(SALU_CYCLE_1)
	s_xor_b32 s9, exec_lo, s9
	s_cbranch_execz .LBB6_13
; %bb.10:
	v_cmp_eq_u32_e32 vcc_lo, v5, v2
	v_cmp_gt_i32_e64 s1, s17, v5
	s_delay_alu instid0(VALU_DEP_1) | instskip(NEXT) | instid1(SALU_CYCLE_1)
	s_and_b32 s13, vcc_lo, s1
	s_and_saveexec_b32 s1, s13
	s_cbranch_execz .LBB6_12
; %bb.11:
	v_ashrrev_i32_e32 v1, 31, v5
	v_mul_lo_u32 v8, v5, s11
	v_mad_u64_u32 v[6:7], null, v5, s10, 0
	s_delay_alu instid0(VALU_DEP_3) | instskip(NEXT) | instid1(VALU_DEP_1)
	v_mul_lo_u32 v1, v1, s10
	v_add3_u32 v7, v7, v8, v1
	v_ashrrev_i32_e32 v1, 31, v0
	s_delay_alu instid0(VALU_DEP_2) | instskip(NEXT) | instid1(VALU_DEP_2)
	v_lshlrev_b64 v[6:7], 4, v[6:7]
	v_lshlrev_b64 v[10:11], 4, v[0:1]
	s_delay_alu instid0(VALU_DEP_2) | instskip(NEXT) | instid1(VALU_DEP_3)
	v_add_co_u32 v6, vcc_lo, s6, v6
	v_add_co_ci_u32_e32 v7, vcc_lo, s7, v7, vcc_lo
	s_delay_alu instid0(VALU_DEP_3) | instskip(NEXT) | instid1(VALU_DEP_4)
	v_add_co_u32 v10, vcc_lo, s2, v10
	v_add_co_ci_u32_e32 v11, vcc_lo, s3, v11, vcc_lo
	global_load_b128 v[6:9], v[6:7], off
	global_load_b64 v[12:13], v[10:11], off
	s_waitcnt vmcnt(1)
	v_mul_f64 v[8:9], v[8:9], v[8:9]
	s_delay_alu instid0(VALU_DEP_1) | instskip(SKIP_1) | instid1(VALU_DEP_1)
	v_fma_f64 v[6:7], v[6:7], v[6:7], v[8:9]
	v_mov_b32_e32 v8, 0
	v_mov_b32_e32 v9, v8
	s_waitcnt vmcnt(0)
	s_delay_alu instid0(VALU_DEP_3)
	v_fma_f64 v[6:7], s[4:5], v[6:7], v[12:13]
	global_store_b128 v[10:11], v[6:9], off
.LBB6_12:
	s_or_b32 exec_lo, exec_lo, s1
	s_delay_alu instid0(SALU_CYCLE_1)
	s_and_not1_b32 s8, s8, exec_lo
.LBB6_13:
	s_or_b32 exec_lo, exec_lo, s9
	v_ashrrev_i32_e32 v1, 31, v0
	s_and_saveexec_b32 s1, s8
	s_cbranch_execz .LBB6_15
; %bb.14:
	v_ashrrev_i32_e32 v8, 31, v5
	v_mul_lo_u32 v9, v5, s11
	v_mad_u64_u32 v[6:7], null, v5, s10, 0
	v_lshlrev_b64 v[14:15], 4, v[0:1]
	s_delay_alu instid0(VALU_DEP_4) | instskip(NEXT) | instid1(VALU_DEP_1)
	v_mul_lo_u32 v8, v8, s10
	v_add3_u32 v7, v7, v9, v8
	s_delay_alu instid0(VALU_DEP_1) | instskip(NEXT) | instid1(VALU_DEP_1)
	v_lshlrev_b64 v[6:7], 4, v[6:7]
	v_add_co_u32 v6, vcc_lo, s6, v6
	s_delay_alu instid0(VALU_DEP_2)
	v_add_co_ci_u32_e32 v7, vcc_lo, s7, v7, vcc_lo
	v_add_co_u32 v18, vcc_lo, s2, v14
	v_add_co_ci_u32_e32 v19, vcc_lo, s3, v15, vcc_lo
	s_clause 0x1
	global_load_b128 v[6:9], v[6:7], off
	global_load_b128 v[10:13], v[3:4], off
	;; [unrolled: 1-line block ×3, first 2 shown]
	s_waitcnt vmcnt(2)
	v_mul_f64 v[8:9], s[4:5], v[8:9]
	v_mul_f64 v[6:7], s[4:5], v[6:7]
	s_waitcnt vmcnt(1)
	s_delay_alu instid0(VALU_DEP_2) | instskip(NEXT) | instid1(VALU_DEP_2)
	v_mul_f64 v[20:21], v[8:9], v[12:13]
	v_mul_f64 v[12:13], v[6:7], v[12:13]
	s_delay_alu instid0(VALU_DEP_2) | instskip(NEXT) | instid1(VALU_DEP_2)
	v_fma_f64 v[6:7], v[6:7], v[10:11], v[20:21]
	v_fma_f64 v[8:9], v[8:9], v[10:11], -v[12:13]
	s_waitcnt vmcnt(0)
	s_delay_alu instid0(VALU_DEP_2) | instskip(NEXT) | instid1(VALU_DEP_2)
	v_add_f64 v[6:7], v[14:15], v[6:7]
	v_add_f64 v[8:9], v[16:17], v[8:9]
	global_store_b128 v[18:19], v[6:9], off
.LBB6_15:
	s_or_b32 exec_lo, exec_lo, s1
	v_add_nc_u32_e32 v5, 64, v5
	s_and_not1_b32 vcc_lo, exec_lo, s12
	s_delay_alu instid0(VALU_DEP_1)
	v_cmp_gt_i32_e64 s1, s17, v5
	s_cbranch_vccnz .LBB6_17
; %bb.16:
	v_cmp_lt_i32_e32 vcc_lo, v2, v5
	s_delay_alu instid0(VALU_DEP_2) | instskip(NEXT) | instid1(SALU_CYCLE_1)
	s_and_b32 s1, s1, vcc_lo
	s_xor_b32 s9, s1, -1
	s_and_b32 s1, s1, exec_lo
	s_and_b32 s9, s9, exec_lo
	s_cbranch_execz .LBB6_18
	s_branch .LBB6_19
.LBB6_17:
	s_mov_b32 s9, 0
	s_mov_b32 s1, 0
.LBB6_18:
	v_cmp_ge_i32_e32 vcc_lo, v5, v2
	s_xor_b32 s0, s0, -1
	s_and_not1_b32 s8, s9, exec_lo
	s_or_b32 s1, s1, exec_lo
	s_or_b32 s0, s0, vcc_lo
	s_delay_alu instid0(SALU_CYCLE_1) | instskip(NEXT) | instid1(SALU_CYCLE_1)
	s_and_b32 s0, s0, exec_lo
	s_or_b32 s9, s8, s0
.LBB6_19:
	s_delay_alu instid0(SALU_CYCLE_1)
	s_and_saveexec_b32 s8, s9
	s_cbranch_execnz .LBB6_23
; %bb.20:
	s_or_b32 exec_lo, exec_lo, s8
	s_and_saveexec_b32 s0, s1
	s_cbranch_execz .LBB6_22
.LBB6_21:
	v_ashrrev_i32_e32 v2, 31, v5
	v_mul_lo_u32 v8, v5, s11
	v_mad_u64_u32 v[6:7], null, v5, s10, 0
	v_lshlrev_b64 v[0:1], 4, v[0:1]
	s_delay_alu instid0(VALU_DEP_4) | instskip(NEXT) | instid1(VALU_DEP_1)
	v_mul_lo_u32 v2, v2, s10
	v_add3_u32 v7, v7, v8, v2
	s_delay_alu instid0(VALU_DEP_1) | instskip(NEXT) | instid1(VALU_DEP_1)
	v_lshlrev_b64 v[5:6], 4, v[6:7]
	v_add_co_u32 v5, vcc_lo, s6, v5
	s_delay_alu instid0(VALU_DEP_2)
	v_add_co_ci_u32_e32 v6, vcc_lo, s7, v6, vcc_lo
	v_add_co_u32 v13, vcc_lo, s2, v0
	v_add_co_ci_u32_e32 v14, vcc_lo, s3, v1, vcc_lo
	s_clause 0x1
	global_load_b128 v[5:8], v[5:6], off
	global_load_b128 v[9:12], v[3:4], off
	global_load_b128 v[0:3], v[13:14], off offset:1024
	s_waitcnt vmcnt(2)
	v_mul_f64 v[7:8], s[4:5], v[7:8]
	v_mul_f64 v[4:5], s[4:5], v[5:6]
	s_waitcnt vmcnt(1)
	s_delay_alu instid0(VALU_DEP_2) | instskip(NEXT) | instid1(VALU_DEP_2)
	v_mul_f64 v[15:16], v[7:8], v[11:12]
	v_mul_f64 v[11:12], v[4:5], v[11:12]
	s_delay_alu instid0(VALU_DEP_2) | instskip(NEXT) | instid1(VALU_DEP_2)
	v_fma_f64 v[4:5], v[4:5], v[9:10], v[15:16]
	v_fma_f64 v[6:7], v[7:8], v[9:10], -v[11:12]
	s_waitcnt vmcnt(0)
	s_delay_alu instid0(VALU_DEP_2) | instskip(NEXT) | instid1(VALU_DEP_2)
	v_add_f64 v[0:1], v[0:1], v[4:5]
	v_add_f64 v[2:3], v[2:3], v[6:7]
	global_store_b128 v[13:14], v[0:3], off offset:1024
.LBB6_22:
	s_nop 0
	s_sendmsg sendmsg(MSG_DEALLOC_VGPRS)
	s_endpgm
.LBB6_23:
	v_cmp_eq_u32_e32 vcc_lo, v5, v2
	v_cmp_gt_i32_e64 s0, s17, v5
	s_delay_alu instid0(VALU_DEP_1) | instskip(NEXT) | instid1(SALU_CYCLE_1)
	s_and_b32 s9, vcc_lo, s0
	s_and_saveexec_b32 s0, s9
	s_cbranch_execz .LBB6_25
; %bb.24:
	global_load_b128 v[6:9], v[3:4], off
	v_lshlrev_b64 v[10:11], 4, v[0:1]
	s_delay_alu instid0(VALU_DEP_1) | instskip(NEXT) | instid1(VALU_DEP_2)
	v_add_co_u32 v10, vcc_lo, s2, v10
	v_add_co_ci_u32_e32 v11, vcc_lo, s3, v11, vcc_lo
	global_load_b64 v[12:13], v[10:11], off offset:1024
	s_waitcnt vmcnt(1)
	v_mul_f64 v[8:9], v[8:9], v[8:9]
	s_delay_alu instid0(VALU_DEP_1) | instskip(SKIP_1) | instid1(VALU_DEP_1)
	v_fma_f64 v[6:7], v[6:7], v[6:7], v[8:9]
	v_mov_b32_e32 v8, 0
	v_mov_b32_e32 v9, v8
	s_waitcnt vmcnt(0)
	s_delay_alu instid0(VALU_DEP_3)
	v_fma_f64 v[6:7], s[4:5], v[6:7], v[12:13]
	global_store_b128 v[10:11], v[6:9], off offset:1024
.LBB6_25:
	s_or_b32 exec_lo, exec_lo, s0
	s_delay_alu instid0(SALU_CYCLE_1)
	s_and_not1_b32 s1, s1, exec_lo
	s_or_b32 exec_lo, exec_lo, s8
	s_and_saveexec_b32 s0, s1
	s_cbranch_execnz .LBB6_21
	s_branch .LBB6_22
	.section	.rodata,"a",@progbits
	.p2align	6, 0x0
	.amdhsa_kernel _ZL18rocblas_hpr_kernelILi64ELi16ELi2EPKdPKPK19rocblas_complex_numIdEPKPS3_EvbiT2_T3_lllT4_lli
		.amdhsa_group_segment_fixed_size 0
		.amdhsa_private_segment_fixed_size 0
		.amdhsa_kernarg_size 76
		.amdhsa_user_sgpr_count 13
		.amdhsa_user_sgpr_dispatch_ptr 0
		.amdhsa_user_sgpr_queue_ptr 0
		.amdhsa_user_sgpr_kernarg_segment_ptr 1
		.amdhsa_user_sgpr_dispatch_id 0
		.amdhsa_user_sgpr_private_segment_size 0
		.amdhsa_wavefront_size32 1
		.amdhsa_uses_dynamic_stack 0
		.amdhsa_enable_private_segment 0
		.amdhsa_system_sgpr_workgroup_id_x 1
		.amdhsa_system_sgpr_workgroup_id_y 1
		.amdhsa_system_sgpr_workgroup_id_z 1
		.amdhsa_system_sgpr_workgroup_info 0
		.amdhsa_system_vgpr_workitem_id 1
		.amdhsa_next_free_vgpr 22
		.amdhsa_next_free_sgpr 20
		.amdhsa_reserve_vcc 1
		.amdhsa_float_round_mode_32 0
		.amdhsa_float_round_mode_16_64 0
		.amdhsa_float_denorm_mode_32 3
		.amdhsa_float_denorm_mode_16_64 3
		.amdhsa_dx10_clamp 1
		.amdhsa_ieee_mode 1
		.amdhsa_fp16_overflow 0
		.amdhsa_workgroup_processor_mode 1
		.amdhsa_memory_ordered 1
		.amdhsa_forward_progress 0
		.amdhsa_shared_vgpr_count 0
		.amdhsa_exception_fp_ieee_invalid_op 0
		.amdhsa_exception_fp_denorm_src 0
		.amdhsa_exception_fp_ieee_div_zero 0
		.amdhsa_exception_fp_ieee_overflow 0
		.amdhsa_exception_fp_ieee_underflow 0
		.amdhsa_exception_fp_ieee_inexact 0
		.amdhsa_exception_int_div_zero 0
	.end_amdhsa_kernel
	.section	.text._ZL18rocblas_hpr_kernelILi64ELi16ELi2EPKdPKPK19rocblas_complex_numIdEPKPS3_EvbiT2_T3_lllT4_lli,"axG",@progbits,_ZL18rocblas_hpr_kernelILi64ELi16ELi2EPKdPKPK19rocblas_complex_numIdEPKPS3_EvbiT2_T3_lllT4_lli,comdat
.Lfunc_end6:
	.size	_ZL18rocblas_hpr_kernelILi64ELi16ELi2EPKdPKPK19rocblas_complex_numIdEPKPS3_EvbiT2_T3_lllT4_lli, .Lfunc_end6-_ZL18rocblas_hpr_kernelILi64ELi16ELi2EPKdPKPK19rocblas_complex_numIdEPKPS3_EvbiT2_T3_lllT4_lli
                                        ; -- End function
	.section	.AMDGPU.csdata,"",@progbits
; Kernel info:
; codeLenInByte = 1412
; NumSgprs: 22
; NumVgprs: 22
; ScratchSize: 0
; MemoryBound: 0
; FloatMode: 240
; IeeeMode: 1
; LDSByteSize: 0 bytes/workgroup (compile time only)
; SGPRBlocks: 2
; VGPRBlocks: 2
; NumSGPRsForWavesPerEU: 22
; NumVGPRsForWavesPerEU: 22
; Occupancy: 16
; WaveLimiterHint : 1
; COMPUTE_PGM_RSRC2:SCRATCH_EN: 0
; COMPUTE_PGM_RSRC2:USER_SGPR: 13
; COMPUTE_PGM_RSRC2:TRAP_HANDLER: 0
; COMPUTE_PGM_RSRC2:TGID_X_EN: 1
; COMPUTE_PGM_RSRC2:TGID_Y_EN: 1
; COMPUTE_PGM_RSRC2:TGID_Z_EN: 1
; COMPUTE_PGM_RSRC2:TIDIG_COMP_CNT: 1
	.section	.text._ZL18rocblas_hpr_kernelILi64ELi16ELi2EdPKPK19rocblas_complex_numIdEPKPS1_EvbiT2_T3_lllT4_lli,"axG",@progbits,_ZL18rocblas_hpr_kernelILi64ELi16ELi2EdPKPK19rocblas_complex_numIdEPKPS1_EvbiT2_T3_lllT4_lli,comdat
	.globl	_ZL18rocblas_hpr_kernelILi64ELi16ELi2EdPKPK19rocblas_complex_numIdEPKPS1_EvbiT2_T3_lllT4_lli ; -- Begin function _ZL18rocblas_hpr_kernelILi64ELi16ELi2EdPKPK19rocblas_complex_numIdEPKPS1_EvbiT2_T3_lllT4_lli
	.p2align	8
	.type	_ZL18rocblas_hpr_kernelILi64ELi16ELi2EdPKPK19rocblas_complex_numIdEPKPS1_EvbiT2_T3_lllT4_lli,@function
_ZL18rocblas_hpr_kernelILi64ELi16ELi2EdPKPK19rocblas_complex_numIdEPKPS1_EvbiT2_T3_lllT4_lli: ; @_ZL18rocblas_hpr_kernelILi64ELi16ELi2EdPKPK19rocblas_complex_numIdEPKPS1_EvbiT2_T3_lllT4_lli
; %bb.0:
	s_load_b256 s[4:11], s[0:1], 0x8
	s_waitcnt lgkmcnt(0)
	v_cmp_eq_f64_e64 s2, s[4:5], 0
	s_delay_alu instid0(VALU_DEP_1)
	s_and_b32 vcc_lo, exec_lo, s2
	s_cbranch_vccnz .LBB7_22
; %bb.1:
	s_clause 0x1
	s_load_b64 s[16:17], s[0:1], 0x0
	s_load_b128 s[0:3], s[0:1], 0x30
	s_mov_b32 s18, s15
	s_mov_b32 s19, 0
	v_and_b32_e32 v1, 0x3ff, v0
	v_bfe_u32 v0, v0, 10, 10
	s_delay_alu instid0(VALU_DEP_2) | instskip(NEXT) | instid1(VALU_DEP_2)
	v_lshl_add_u32 v5, s13, 7, v1
	v_lshl_add_u32 v2, s14, 4, v0
	s_mov_b32 s13, -1
	s_waitcnt lgkmcnt(0)
	s_bitcmp1_b32 s16, 0
	s_cselect_b32 s12, -1, 0
	s_lshl_b64 s[18:19], s[18:19], 3
	s_xor_b32 s12, s12, -1
	s_add_u32 s6, s6, s18
	s_addc_u32 s7, s7, s19
	s_add_u32 s0, s0, s18
	s_addc_u32 s1, s1, s19
	s_load_b64 s[6:7], s[6:7], 0x0
	s_load_b64 s[0:1], s[0:1], 0x0
	s_and_b32 vcc_lo, exec_lo, s12
	s_cbranch_vccz .LBB7_3
; %bb.2:
	s_lshl_b32 s13, s17, 1
	s_delay_alu instid0(SALU_CYCLE_1) | instskip(NEXT) | instid1(VALU_DEP_1)
	v_sub_nc_u32_e32 v3, s13, v2
	v_mad_u64_u32 v[0:1], null, v2, v3, v[2:3]
	s_delay_alu instid0(VALU_DEP_1) | instskip(NEXT) | instid1(VALU_DEP_1)
	v_lshrrev_b32_e32 v1, 31, v0
	v_add_nc_u32_e32 v0, v0, v1
	v_sub_nc_u32_e32 v1, v5, v2
	s_delay_alu instid0(VALU_DEP_2) | instskip(NEXT) | instid1(VALU_DEP_1)
	v_ashrrev_i32_e32 v0, 1, v0
	v_add_nc_u32_e32 v0, v1, v0
	s_cbranch_execz .LBB7_4
	s_branch .LBB7_5
.LBB7_3:
                                        ; implicit-def: $vgpr0
	s_and_not1_b32 vcc_lo, exec_lo, s13
	s_cbranch_vccnz .LBB7_5
.LBB7_4:
	v_mad_u64_u32 v[0:1], null, v2, v2, v[2:3]
	s_delay_alu instid0(VALU_DEP_1) | instskip(NEXT) | instid1(VALU_DEP_1)
	v_lshrrev_b32_e32 v1, 31, v0
	v_add_nc_u32_e32 v0, v0, v1
	s_delay_alu instid0(VALU_DEP_1) | instskip(NEXT) | instid1(VALU_DEP_1)
	v_ashrrev_i32_e32 v0, 1, v0
	v_add_nc_u32_e32 v0, v0, v5
.LBB7_5:
	v_ashrrev_i32_e32 v1, 31, v2
	v_mul_lo_u32 v6, v2, s11
	v_mad_u64_u32 v[3:4], null, v2, s10, 0
	s_lshl_b64 s[8:9], s[8:9], 4
	s_delay_alu instid0(VALU_DEP_3) | instskip(SKIP_4) | instid1(SALU_CYCLE_1)
	v_mul_lo_u32 v1, v1, s10
	s_waitcnt lgkmcnt(0)
	s_add_u32 s6, s6, s8
	s_addc_u32 s7, s7, s9
	s_lshl_b64 s[2:3], s[2:3], 4
	s_add_u32 s2, s0, s2
	v_cmp_gt_i32_e64 s0, s17, v2
	s_addc_u32 s3, s1, s3
	v_add3_u32 v4, v4, v6, v1
	s_and_b32 vcc_lo, exec_lo, s12
	s_delay_alu instid0(VALU_DEP_1)
	v_lshlrev_b64 v[3:4], 4, v[3:4]
	s_cbranch_vccz .LBB7_7
; %bb.6:
	v_cmp_le_i32_e32 vcc_lo, s17, v5
	v_cmp_le_i32_e64 s1, v5, v2
	s_mov_b32 s8, -1
	s_delay_alu instid0(VALU_DEP_1) | instskip(NEXT) | instid1(SALU_CYCLE_1)
	s_or_b32 s1, s1, vcc_lo
	s_and_b32 s1, s1, exec_lo
	s_cbranch_execz .LBB7_8
	s_branch .LBB7_9
.LBB7_7:
	s_mov_b32 s1, 0
	s_mov_b32 s8, 0
.LBB7_8:
	v_cmp_lt_i32_e32 vcc_lo, v5, v2
	s_and_not1_b32 s8, s8, exec_lo
	s_and_not1_b32 s1, s1, exec_lo
	s_and_b32 s9, vcc_lo, s0
	s_delay_alu instid0(SALU_CYCLE_1)
	s_xor_b32 s13, s9, -1
	s_and_b32 s9, s9, exec_lo
	s_and_b32 s13, s13, exec_lo
	s_or_b32 s8, s8, s9
	s_or_b32 s1, s1, s13
.LBB7_9:
	v_add_co_u32 v3, vcc_lo, s6, v3
	v_add_co_ci_u32_e32 v4, vcc_lo, s7, v4, vcc_lo
	s_and_saveexec_b32 s9, s1
	s_delay_alu instid0(SALU_CYCLE_1)
	s_xor_b32 s9, exec_lo, s9
	s_cbranch_execz .LBB7_13
; %bb.10:
	v_cmp_eq_u32_e32 vcc_lo, v5, v2
	v_cmp_gt_i32_e64 s1, s17, v5
	s_delay_alu instid0(VALU_DEP_1) | instskip(NEXT) | instid1(SALU_CYCLE_1)
	s_and_b32 s13, vcc_lo, s1
	s_and_saveexec_b32 s1, s13
	s_cbranch_execz .LBB7_12
; %bb.11:
	v_ashrrev_i32_e32 v1, 31, v5
	v_mul_lo_u32 v8, v5, s11
	v_mad_u64_u32 v[6:7], null, v5, s10, 0
	s_delay_alu instid0(VALU_DEP_3) | instskip(NEXT) | instid1(VALU_DEP_1)
	v_mul_lo_u32 v1, v1, s10
	v_add3_u32 v7, v7, v8, v1
	v_ashrrev_i32_e32 v1, 31, v0
	s_delay_alu instid0(VALU_DEP_2) | instskip(NEXT) | instid1(VALU_DEP_2)
	v_lshlrev_b64 v[6:7], 4, v[6:7]
	v_lshlrev_b64 v[10:11], 4, v[0:1]
	s_delay_alu instid0(VALU_DEP_2) | instskip(NEXT) | instid1(VALU_DEP_3)
	v_add_co_u32 v6, vcc_lo, s6, v6
	v_add_co_ci_u32_e32 v7, vcc_lo, s7, v7, vcc_lo
	s_delay_alu instid0(VALU_DEP_3) | instskip(NEXT) | instid1(VALU_DEP_4)
	v_add_co_u32 v10, vcc_lo, s2, v10
	v_add_co_ci_u32_e32 v11, vcc_lo, s3, v11, vcc_lo
	global_load_b128 v[6:9], v[6:7], off
	global_load_b64 v[12:13], v[10:11], off
	s_waitcnt vmcnt(1)
	v_mul_f64 v[8:9], v[8:9], v[8:9]
	s_delay_alu instid0(VALU_DEP_1) | instskip(SKIP_1) | instid1(VALU_DEP_1)
	v_fma_f64 v[6:7], v[6:7], v[6:7], v[8:9]
	v_mov_b32_e32 v8, 0
	v_mov_b32_e32 v9, v8
	s_waitcnt vmcnt(0)
	s_delay_alu instid0(VALU_DEP_3)
	v_fma_f64 v[6:7], v[6:7], s[4:5], v[12:13]
	global_store_b128 v[10:11], v[6:9], off
.LBB7_12:
	s_or_b32 exec_lo, exec_lo, s1
	s_delay_alu instid0(SALU_CYCLE_1)
	s_and_not1_b32 s8, s8, exec_lo
.LBB7_13:
	s_or_b32 exec_lo, exec_lo, s9
	v_ashrrev_i32_e32 v1, 31, v0
	s_and_saveexec_b32 s1, s8
	s_cbranch_execz .LBB7_15
; %bb.14:
	v_ashrrev_i32_e32 v8, 31, v5
	v_mul_lo_u32 v9, v5, s11
	v_mad_u64_u32 v[6:7], null, v5, s10, 0
	v_lshlrev_b64 v[14:15], 4, v[0:1]
	s_delay_alu instid0(VALU_DEP_4) | instskip(NEXT) | instid1(VALU_DEP_1)
	v_mul_lo_u32 v8, v8, s10
	v_add3_u32 v7, v7, v9, v8
	s_delay_alu instid0(VALU_DEP_1) | instskip(NEXT) | instid1(VALU_DEP_1)
	v_lshlrev_b64 v[6:7], 4, v[6:7]
	v_add_co_u32 v6, vcc_lo, s6, v6
	s_delay_alu instid0(VALU_DEP_2)
	v_add_co_ci_u32_e32 v7, vcc_lo, s7, v7, vcc_lo
	v_add_co_u32 v18, vcc_lo, s2, v14
	v_add_co_ci_u32_e32 v19, vcc_lo, s3, v15, vcc_lo
	s_clause 0x1
	global_load_b128 v[6:9], v[6:7], off
	global_load_b128 v[10:13], v[3:4], off
	global_load_b128 v[14:17], v[18:19], off
	s_waitcnt vmcnt(2)
	v_mul_f64 v[8:9], v[8:9], s[4:5]
	v_mul_f64 v[6:7], v[6:7], s[4:5]
	s_waitcnt vmcnt(1)
	s_delay_alu instid0(VALU_DEP_2) | instskip(NEXT) | instid1(VALU_DEP_2)
	v_mul_f64 v[20:21], v[8:9], v[12:13]
	v_mul_f64 v[12:13], v[6:7], v[12:13]
	s_delay_alu instid0(VALU_DEP_2) | instskip(NEXT) | instid1(VALU_DEP_2)
	v_fma_f64 v[6:7], v[6:7], v[10:11], v[20:21]
	v_fma_f64 v[8:9], v[8:9], v[10:11], -v[12:13]
	s_waitcnt vmcnt(0)
	s_delay_alu instid0(VALU_DEP_2) | instskip(NEXT) | instid1(VALU_DEP_2)
	v_add_f64 v[6:7], v[14:15], v[6:7]
	v_add_f64 v[8:9], v[16:17], v[8:9]
	global_store_b128 v[18:19], v[6:9], off
.LBB7_15:
	s_or_b32 exec_lo, exec_lo, s1
	v_add_nc_u32_e32 v5, 64, v5
	s_and_not1_b32 vcc_lo, exec_lo, s12
	s_delay_alu instid0(VALU_DEP_1)
	v_cmp_gt_i32_e64 s1, s17, v5
	s_cbranch_vccnz .LBB7_17
; %bb.16:
	v_cmp_lt_i32_e32 vcc_lo, v2, v5
	s_delay_alu instid0(VALU_DEP_2) | instskip(NEXT) | instid1(SALU_CYCLE_1)
	s_and_b32 s1, s1, vcc_lo
	s_xor_b32 s9, s1, -1
	s_and_b32 s1, s1, exec_lo
	s_and_b32 s9, s9, exec_lo
	s_cbranch_execz .LBB7_18
	s_branch .LBB7_19
.LBB7_17:
	s_mov_b32 s9, 0
	s_mov_b32 s1, 0
.LBB7_18:
	v_cmp_ge_i32_e32 vcc_lo, v5, v2
	s_xor_b32 s0, s0, -1
	s_and_not1_b32 s8, s9, exec_lo
	s_or_b32 s1, s1, exec_lo
	s_or_b32 s0, s0, vcc_lo
	s_delay_alu instid0(SALU_CYCLE_1) | instskip(NEXT) | instid1(SALU_CYCLE_1)
	s_and_b32 s0, s0, exec_lo
	s_or_b32 s9, s8, s0
.LBB7_19:
	s_delay_alu instid0(SALU_CYCLE_1)
	s_and_saveexec_b32 s8, s9
	s_cbranch_execnz .LBB7_23
; %bb.20:
	s_or_b32 exec_lo, exec_lo, s8
	s_and_saveexec_b32 s0, s1
	s_cbranch_execz .LBB7_22
.LBB7_21:
	v_ashrrev_i32_e32 v2, 31, v5
	v_mul_lo_u32 v8, v5, s11
	v_mad_u64_u32 v[6:7], null, v5, s10, 0
	v_lshlrev_b64 v[0:1], 4, v[0:1]
	s_delay_alu instid0(VALU_DEP_4) | instskip(NEXT) | instid1(VALU_DEP_1)
	v_mul_lo_u32 v2, v2, s10
	v_add3_u32 v7, v7, v8, v2
	s_delay_alu instid0(VALU_DEP_1) | instskip(NEXT) | instid1(VALU_DEP_1)
	v_lshlrev_b64 v[5:6], 4, v[6:7]
	v_add_co_u32 v5, vcc_lo, s6, v5
	s_delay_alu instid0(VALU_DEP_2)
	v_add_co_ci_u32_e32 v6, vcc_lo, s7, v6, vcc_lo
	v_add_co_u32 v13, vcc_lo, s2, v0
	v_add_co_ci_u32_e32 v14, vcc_lo, s3, v1, vcc_lo
	s_clause 0x1
	global_load_b128 v[5:8], v[5:6], off
	global_load_b128 v[9:12], v[3:4], off
	global_load_b128 v[0:3], v[13:14], off offset:1024
	s_waitcnt vmcnt(2)
	v_mul_f64 v[7:8], v[7:8], s[4:5]
	v_mul_f64 v[4:5], v[5:6], s[4:5]
	s_waitcnt vmcnt(1)
	s_delay_alu instid0(VALU_DEP_2) | instskip(NEXT) | instid1(VALU_DEP_2)
	v_mul_f64 v[15:16], v[7:8], v[11:12]
	v_mul_f64 v[11:12], v[4:5], v[11:12]
	s_delay_alu instid0(VALU_DEP_2) | instskip(NEXT) | instid1(VALU_DEP_2)
	v_fma_f64 v[4:5], v[4:5], v[9:10], v[15:16]
	v_fma_f64 v[6:7], v[7:8], v[9:10], -v[11:12]
	s_waitcnt vmcnt(0)
	s_delay_alu instid0(VALU_DEP_2) | instskip(NEXT) | instid1(VALU_DEP_2)
	v_add_f64 v[0:1], v[0:1], v[4:5]
	v_add_f64 v[2:3], v[2:3], v[6:7]
	global_store_b128 v[13:14], v[0:3], off offset:1024
.LBB7_22:
	s_nop 0
	s_sendmsg sendmsg(MSG_DEALLOC_VGPRS)
	s_endpgm
.LBB7_23:
	v_cmp_eq_u32_e32 vcc_lo, v5, v2
	v_cmp_gt_i32_e64 s0, s17, v5
	s_delay_alu instid0(VALU_DEP_1) | instskip(NEXT) | instid1(SALU_CYCLE_1)
	s_and_b32 s9, vcc_lo, s0
	s_and_saveexec_b32 s0, s9
	s_cbranch_execz .LBB7_25
; %bb.24:
	global_load_b128 v[6:9], v[3:4], off
	v_lshlrev_b64 v[10:11], 4, v[0:1]
	s_delay_alu instid0(VALU_DEP_1) | instskip(NEXT) | instid1(VALU_DEP_2)
	v_add_co_u32 v10, vcc_lo, s2, v10
	v_add_co_ci_u32_e32 v11, vcc_lo, s3, v11, vcc_lo
	global_load_b64 v[12:13], v[10:11], off offset:1024
	s_waitcnt vmcnt(1)
	v_mul_f64 v[8:9], v[8:9], v[8:9]
	s_delay_alu instid0(VALU_DEP_1) | instskip(SKIP_1) | instid1(VALU_DEP_1)
	v_fma_f64 v[6:7], v[6:7], v[6:7], v[8:9]
	v_mov_b32_e32 v8, 0
	v_mov_b32_e32 v9, v8
	s_waitcnt vmcnt(0)
	s_delay_alu instid0(VALU_DEP_3)
	v_fma_f64 v[6:7], v[6:7], s[4:5], v[12:13]
	global_store_b128 v[10:11], v[6:9], off offset:1024
.LBB7_25:
	s_or_b32 exec_lo, exec_lo, s0
	s_delay_alu instid0(SALU_CYCLE_1)
	s_and_not1_b32 s1, s1, exec_lo
	s_or_b32 exec_lo, exec_lo, s8
	s_and_saveexec_b32 s0, s1
	s_cbranch_execnz .LBB7_21
	s_branch .LBB7_22
	.section	.rodata,"a",@progbits
	.p2align	6, 0x0
	.amdhsa_kernel _ZL18rocblas_hpr_kernelILi64ELi16ELi2EdPKPK19rocblas_complex_numIdEPKPS1_EvbiT2_T3_lllT4_lli
		.amdhsa_group_segment_fixed_size 0
		.amdhsa_private_segment_fixed_size 0
		.amdhsa_kernarg_size 76
		.amdhsa_user_sgpr_count 13
		.amdhsa_user_sgpr_dispatch_ptr 0
		.amdhsa_user_sgpr_queue_ptr 0
		.amdhsa_user_sgpr_kernarg_segment_ptr 1
		.amdhsa_user_sgpr_dispatch_id 0
		.amdhsa_user_sgpr_private_segment_size 0
		.amdhsa_wavefront_size32 1
		.amdhsa_uses_dynamic_stack 0
		.amdhsa_enable_private_segment 0
		.amdhsa_system_sgpr_workgroup_id_x 1
		.amdhsa_system_sgpr_workgroup_id_y 1
		.amdhsa_system_sgpr_workgroup_id_z 1
		.amdhsa_system_sgpr_workgroup_info 0
		.amdhsa_system_vgpr_workitem_id 1
		.amdhsa_next_free_vgpr 22
		.amdhsa_next_free_sgpr 20
		.amdhsa_reserve_vcc 1
		.amdhsa_float_round_mode_32 0
		.amdhsa_float_round_mode_16_64 0
		.amdhsa_float_denorm_mode_32 3
		.amdhsa_float_denorm_mode_16_64 3
		.amdhsa_dx10_clamp 1
		.amdhsa_ieee_mode 1
		.amdhsa_fp16_overflow 0
		.amdhsa_workgroup_processor_mode 1
		.amdhsa_memory_ordered 1
		.amdhsa_forward_progress 0
		.amdhsa_shared_vgpr_count 0
		.amdhsa_exception_fp_ieee_invalid_op 0
		.amdhsa_exception_fp_denorm_src 0
		.amdhsa_exception_fp_ieee_div_zero 0
		.amdhsa_exception_fp_ieee_overflow 0
		.amdhsa_exception_fp_ieee_underflow 0
		.amdhsa_exception_fp_ieee_inexact 0
		.amdhsa_exception_int_div_zero 0
	.end_amdhsa_kernel
	.section	.text._ZL18rocblas_hpr_kernelILi64ELi16ELi2EdPKPK19rocblas_complex_numIdEPKPS1_EvbiT2_T3_lllT4_lli,"axG",@progbits,_ZL18rocblas_hpr_kernelILi64ELi16ELi2EdPKPK19rocblas_complex_numIdEPKPS1_EvbiT2_T3_lllT4_lli,comdat
.Lfunc_end7:
	.size	_ZL18rocblas_hpr_kernelILi64ELi16ELi2EdPKPK19rocblas_complex_numIdEPKPS1_EvbiT2_T3_lllT4_lli, .Lfunc_end7-_ZL18rocblas_hpr_kernelILi64ELi16ELi2EdPKPK19rocblas_complex_numIdEPKPS1_EvbiT2_T3_lllT4_lli
                                        ; -- End function
	.section	.AMDGPU.csdata,"",@progbits
; Kernel info:
; codeLenInByte = 1400
; NumSgprs: 22
; NumVgprs: 22
; ScratchSize: 0
; MemoryBound: 0
; FloatMode: 240
; IeeeMode: 1
; LDSByteSize: 0 bytes/workgroup (compile time only)
; SGPRBlocks: 2
; VGPRBlocks: 2
; NumSGPRsForWavesPerEU: 22
; NumVGPRsForWavesPerEU: 22
; Occupancy: 16
; WaveLimiterHint : 1
; COMPUTE_PGM_RSRC2:SCRATCH_EN: 0
; COMPUTE_PGM_RSRC2:USER_SGPR: 13
; COMPUTE_PGM_RSRC2:TRAP_HANDLER: 0
; COMPUTE_PGM_RSRC2:TGID_X_EN: 1
; COMPUTE_PGM_RSRC2:TGID_Y_EN: 1
; COMPUTE_PGM_RSRC2:TGID_Z_EN: 1
; COMPUTE_PGM_RSRC2:TIDIG_COMP_CNT: 1
	.text
	.p2alignl 7, 3214868480
	.fill 96, 4, 3214868480
	.type	__hip_cuid_491d523f1e734eed,@object ; @__hip_cuid_491d523f1e734eed
	.section	.bss,"aw",@nobits
	.globl	__hip_cuid_491d523f1e734eed
__hip_cuid_491d523f1e734eed:
	.byte	0                               ; 0x0
	.size	__hip_cuid_491d523f1e734eed, 1

	.ident	"AMD clang version 19.0.0git (https://github.com/RadeonOpenCompute/llvm-project roc-6.4.0 25133 c7fe45cf4b819c5991fe208aaa96edf142730f1d)"
	.section	".note.GNU-stack","",@progbits
	.addrsig
	.addrsig_sym __hip_cuid_491d523f1e734eed
	.amdgpu_metadata
---
amdhsa.kernels:
  - .args:
      - .offset:         0
        .size:           1
        .value_kind:     by_value
      - .offset:         4
        .size:           4
        .value_kind:     by_value
      - .address_space:  global
        .offset:         8
        .size:           8
        .value_kind:     global_buffer
      - .address_space:  global
        .offset:         16
        .size:           8
        .value_kind:     global_buffer
      - .offset:         24
        .size:           8
        .value_kind:     by_value
      - .offset:         32
        .size:           8
        .value_kind:     by_value
      - .offset:         40
        .size:           8
        .value_kind:     by_value
      - .address_space:  global
        .offset:         48
        .size:           8
        .value_kind:     global_buffer
      - .offset:         56
        .size:           8
        .value_kind:     by_value
      - .offset:         64
        .size:           8
        .value_kind:     by_value
      - .offset:         72
        .size:           4
        .value_kind:     by_value
    .group_segment_fixed_size: 0
    .kernarg_segment_align: 8
    .kernarg_segment_size: 76
    .language:       OpenCL C
    .language_version:
      - 2
      - 0
    .max_flat_workgroup_size: 1024
    .name:           _ZL18rocblas_hpr_kernelILi64ELi16ELi2EPKfPK19rocblas_complex_numIfEPS3_EvbiT2_T3_lllT4_lli
    .private_segment_fixed_size: 0
    .sgpr_count:     34
    .sgpr_spill_count: 0
    .symbol:         _ZL18rocblas_hpr_kernelILi64ELi16ELi2EPKfPK19rocblas_complex_numIfEPS3_EvbiT2_T3_lllT4_lli.kd
    .uniform_work_group_size: 1
    .uses_dynamic_stack: false
    .vgpr_count:     15
    .vgpr_spill_count: 0
    .wavefront_size: 32
    .workgroup_processor_mode: 1
  - .args:
      - .offset:         0
        .size:           1
        .value_kind:     by_value
      - .offset:         4
        .size:           4
        .value_kind:     by_value
      - .offset:         8
        .size:           4
        .value_kind:     by_value
      - .address_space:  global
        .offset:         16
        .size:           8
        .value_kind:     global_buffer
      - .offset:         24
        .size:           8
        .value_kind:     by_value
      - .offset:         32
        .size:           8
        .value_kind:     by_value
      - .offset:         40
        .size:           8
        .value_kind:     by_value
      - .address_space:  global
        .offset:         48
        .size:           8
        .value_kind:     global_buffer
      - .offset:         56
        .size:           8
        .value_kind:     by_value
      - .offset:         64
        .size:           8
        .value_kind:     by_value
      - .offset:         72
        .size:           4
        .value_kind:     by_value
    .group_segment_fixed_size: 0
    .kernarg_segment_align: 8
    .kernarg_segment_size: 76
    .language:       OpenCL C
    .language_version:
      - 2
      - 0
    .max_flat_workgroup_size: 1024
    .name:           _ZL18rocblas_hpr_kernelILi64ELi16ELi2EfPK19rocblas_complex_numIfEPS1_EvbiT2_T3_lllT4_lli
    .private_segment_fixed_size: 0
    .sgpr_count:     30
    .sgpr_spill_count: 0
    .symbol:         _ZL18rocblas_hpr_kernelILi64ELi16ELi2EfPK19rocblas_complex_numIfEPS1_EvbiT2_T3_lllT4_lli.kd
    .uniform_work_group_size: 1
    .uses_dynamic_stack: false
    .vgpr_count:     15
    .vgpr_spill_count: 0
    .wavefront_size: 32
    .workgroup_processor_mode: 1
  - .args:
      - .offset:         0
        .size:           1
        .value_kind:     by_value
      - .offset:         4
        .size:           4
        .value_kind:     by_value
      - .address_space:  global
        .offset:         8
        .size:           8
        .value_kind:     global_buffer
      - .address_space:  global
        .offset:         16
        .size:           8
        .value_kind:     global_buffer
      - .offset:         24
        .size:           8
        .value_kind:     by_value
      - .offset:         32
        .size:           8
        .value_kind:     by_value
      - .offset:         40
        .size:           8
        .value_kind:     by_value
      - .address_space:  global
        .offset:         48
        .size:           8
        .value_kind:     global_buffer
      - .offset:         56
        .size:           8
        .value_kind:     by_value
      - .offset:         64
        .size:           8
        .value_kind:     by_value
      - .offset:         72
        .size:           4
        .value_kind:     by_value
    .group_segment_fixed_size: 0
    .kernarg_segment_align: 8
    .kernarg_segment_size: 76
    .language:       OpenCL C
    .language_version:
      - 2
      - 0
    .max_flat_workgroup_size: 1024
    .name:           _ZL18rocblas_hpr_kernelILi64ELi16ELi2EPKdPK19rocblas_complex_numIdEPS3_EvbiT2_T3_lllT4_lli
    .private_segment_fixed_size: 0
    .sgpr_count:     34
    .sgpr_spill_count: 0
    .symbol:         _ZL18rocblas_hpr_kernelILi64ELi16ELi2EPKdPK19rocblas_complex_numIdEPS3_EvbiT2_T3_lllT4_lli.kd
    .uniform_work_group_size: 1
    .uses_dynamic_stack: false
    .vgpr_count:     22
    .vgpr_spill_count: 0
    .wavefront_size: 32
    .workgroup_processor_mode: 1
  - .args:
      - .offset:         0
        .size:           1
        .value_kind:     by_value
      - .offset:         4
        .size:           4
        .value_kind:     by_value
      - .offset:         8
        .size:           8
        .value_kind:     by_value
      - .address_space:  global
        .offset:         16
        .size:           8
        .value_kind:     global_buffer
      - .offset:         24
        .size:           8
        .value_kind:     by_value
      - .offset:         32
        .size:           8
        .value_kind:     by_value
      - .offset:         40
        .size:           8
        .value_kind:     by_value
      - .address_space:  global
        .offset:         48
        .size:           8
        .value_kind:     global_buffer
      - .offset:         56
        .size:           8
        .value_kind:     by_value
      - .offset:         64
        .size:           8
        .value_kind:     by_value
      - .offset:         72
        .size:           4
        .value_kind:     by_value
    .group_segment_fixed_size: 0
    .kernarg_segment_align: 8
    .kernarg_segment_size: 76
    .language:       OpenCL C
    .language_version:
      - 2
      - 0
    .max_flat_workgroup_size: 1024
    .name:           _ZL18rocblas_hpr_kernelILi64ELi16ELi2EdPK19rocblas_complex_numIdEPS1_EvbiT2_T3_lllT4_lli
    .private_segment_fixed_size: 0
    .sgpr_count:     34
    .sgpr_spill_count: 0
    .symbol:         _ZL18rocblas_hpr_kernelILi64ELi16ELi2EdPK19rocblas_complex_numIdEPS1_EvbiT2_T3_lllT4_lli.kd
    .uniform_work_group_size: 1
    .uses_dynamic_stack: false
    .vgpr_count:     22
    .vgpr_spill_count: 0
    .wavefront_size: 32
    .workgroup_processor_mode: 1
  - .args:
      - .offset:         0
        .size:           1
        .value_kind:     by_value
      - .offset:         4
        .size:           4
        .value_kind:     by_value
      - .address_space:  global
        .offset:         8
        .size:           8
        .value_kind:     global_buffer
      - .address_space:  global
        .offset:         16
        .size:           8
        .value_kind:     global_buffer
      - .offset:         24
        .size:           8
        .value_kind:     by_value
      - .offset:         32
        .size:           8
        .value_kind:     by_value
      - .offset:         40
        .size:           8
        .value_kind:     by_value
      - .address_space:  global
        .offset:         48
        .size:           8
        .value_kind:     global_buffer
      - .offset:         56
        .size:           8
        .value_kind:     by_value
      - .offset:         64
        .size:           8
        .value_kind:     by_value
      - .offset:         72
        .size:           4
        .value_kind:     by_value
    .group_segment_fixed_size: 0
    .kernarg_segment_align: 8
    .kernarg_segment_size: 76
    .language:       OpenCL C
    .language_version:
      - 2
      - 0
    .max_flat_workgroup_size: 1024
    .name:           _ZL18rocblas_hpr_kernelILi64ELi16ELi2EPKfPKPK19rocblas_complex_numIfEPKPS3_EvbiT2_T3_lllT4_lli
    .private_segment_fixed_size: 0
    .sgpr_count:     20
    .sgpr_spill_count: 0
    .symbol:         _ZL18rocblas_hpr_kernelILi64ELi16ELi2EPKfPKPK19rocblas_complex_numIfEPKPS3_EvbiT2_T3_lllT4_lli.kd
    .uniform_work_group_size: 1
    .uses_dynamic_stack: false
    .vgpr_count:     15
    .vgpr_spill_count: 0
    .wavefront_size: 32
    .workgroup_processor_mode: 1
  - .args:
      - .offset:         0
        .size:           1
        .value_kind:     by_value
      - .offset:         4
        .size:           4
        .value_kind:     by_value
      - .offset:         8
        .size:           4
        .value_kind:     by_value
      - .address_space:  global
        .offset:         16
        .size:           8
        .value_kind:     global_buffer
      - .offset:         24
        .size:           8
        .value_kind:     by_value
      - .offset:         32
        .size:           8
        .value_kind:     by_value
      - .offset:         40
        .size:           8
        .value_kind:     by_value
      - .address_space:  global
        .offset:         48
        .size:           8
        .value_kind:     global_buffer
      - .offset:         56
        .size:           8
        .value_kind:     by_value
      - .offset:         64
        .size:           8
        .value_kind:     by_value
      - .offset:         72
        .size:           4
        .value_kind:     by_value
    .group_segment_fixed_size: 0
    .kernarg_segment_align: 8
    .kernarg_segment_size: 76
    .language:       OpenCL C
    .language_version:
      - 2
      - 0
    .max_flat_workgroup_size: 1024
    .name:           _ZL18rocblas_hpr_kernelILi64ELi16ELi2EfPKPK19rocblas_complex_numIfEPKPS1_EvbiT2_T3_lllT4_lli
    .private_segment_fixed_size: 0
    .sgpr_count:     24
    .sgpr_spill_count: 0
    .symbol:         _ZL18rocblas_hpr_kernelILi64ELi16ELi2EfPKPK19rocblas_complex_numIfEPKPS1_EvbiT2_T3_lllT4_lli.kd
    .uniform_work_group_size: 1
    .uses_dynamic_stack: false
    .vgpr_count:     15
    .vgpr_spill_count: 0
    .wavefront_size: 32
    .workgroup_processor_mode: 1
  - .args:
      - .offset:         0
        .size:           1
        .value_kind:     by_value
      - .offset:         4
        .size:           4
        .value_kind:     by_value
      - .address_space:  global
        .offset:         8
        .size:           8
        .value_kind:     global_buffer
      - .address_space:  global
        .offset:         16
        .size:           8
        .value_kind:     global_buffer
      - .offset:         24
        .size:           8
        .value_kind:     by_value
      - .offset:         32
        .size:           8
        .value_kind:     by_value
      - .offset:         40
        .size:           8
        .value_kind:     by_value
      - .address_space:  global
        .offset:         48
        .size:           8
        .value_kind:     global_buffer
      - .offset:         56
        .size:           8
        .value_kind:     by_value
      - .offset:         64
        .size:           8
        .value_kind:     by_value
      - .offset:         72
        .size:           4
        .value_kind:     by_value
    .group_segment_fixed_size: 0
    .kernarg_segment_align: 8
    .kernarg_segment_size: 76
    .language:       OpenCL C
    .language_version:
      - 2
      - 0
    .max_flat_workgroup_size: 1024
    .name:           _ZL18rocblas_hpr_kernelILi64ELi16ELi2EPKdPKPK19rocblas_complex_numIdEPKPS3_EvbiT2_T3_lllT4_lli
    .private_segment_fixed_size: 0
    .sgpr_count:     22
    .sgpr_spill_count: 0
    .symbol:         _ZL18rocblas_hpr_kernelILi64ELi16ELi2EPKdPKPK19rocblas_complex_numIdEPKPS3_EvbiT2_T3_lllT4_lli.kd
    .uniform_work_group_size: 1
    .uses_dynamic_stack: false
    .vgpr_count:     22
    .vgpr_spill_count: 0
    .wavefront_size: 32
    .workgroup_processor_mode: 1
  - .args:
      - .offset:         0
        .size:           1
        .value_kind:     by_value
      - .offset:         4
        .size:           4
        .value_kind:     by_value
      - .offset:         8
        .size:           8
        .value_kind:     by_value
      - .address_space:  global
        .offset:         16
        .size:           8
        .value_kind:     global_buffer
      - .offset:         24
        .size:           8
        .value_kind:     by_value
      - .offset:         32
        .size:           8
        .value_kind:     by_value
      - .offset:         40
        .size:           8
        .value_kind:     by_value
      - .address_space:  global
        .offset:         48
        .size:           8
        .value_kind:     global_buffer
      - .offset:         56
        .size:           8
        .value_kind:     by_value
      - .offset:         64
        .size:           8
        .value_kind:     by_value
      - .offset:         72
        .size:           4
        .value_kind:     by_value
    .group_segment_fixed_size: 0
    .kernarg_segment_align: 8
    .kernarg_segment_size: 76
    .language:       OpenCL C
    .language_version:
      - 2
      - 0
    .max_flat_workgroup_size: 1024
    .name:           _ZL18rocblas_hpr_kernelILi64ELi16ELi2EdPKPK19rocblas_complex_numIdEPKPS1_EvbiT2_T3_lllT4_lli
    .private_segment_fixed_size: 0
    .sgpr_count:     22
    .sgpr_spill_count: 0
    .symbol:         _ZL18rocblas_hpr_kernelILi64ELi16ELi2EdPKPK19rocblas_complex_numIdEPKPS1_EvbiT2_T3_lllT4_lli.kd
    .uniform_work_group_size: 1
    .uses_dynamic_stack: false
    .vgpr_count:     22
    .vgpr_spill_count: 0
    .wavefront_size: 32
    .workgroup_processor_mode: 1
amdhsa.target:   amdgcn-amd-amdhsa--gfx1100
amdhsa.version:
  - 1
  - 2
...

	.end_amdgpu_metadata
